;; amdgpu-corpus repo=ROCm/rocFFT kind=compiled arch=gfx90a opt=O3
	.text
	.amdgcn_target "amdgcn-amd-amdhsa--gfx90a"
	.amdhsa_code_object_version 6
	.protected	_Z10initrdata1Pdmm      ; -- Begin function _Z10initrdata1Pdmm
	.globl	_Z10initrdata1Pdmm
	.p2align	8
	.type	_Z10initrdata1Pdmm,@function
_Z10initrdata1Pdmm:                     ; @_Z10initrdata1Pdmm
; %bb.0:
	s_load_dword s7, s[4:5], 0x24
	s_load_dwordx4 s[0:3], s[4:5], 0x0
	v_mov_b32_e32 v1, 0
	s_waitcnt lgkmcnt(0)
	s_and_b32 s7, s7, 0xffff
	s_mul_i32 s6, s6, s7
	v_add_u32_e32 v0, s6, v0
	v_cmp_gt_u64_e32 vcc, s[2:3], v[0:1]
	s_and_saveexec_b64 s[2:3], vcc
	s_cbranch_execz .LBB0_2
; %bb.1:
	s_load_dwordx2 s[2:3], s[4:5], 0x10
	s_waitcnt lgkmcnt(0)
	v_mad_u64_u32 v[2:3], s[4:5], v0, s2, 0
	v_mov_b32_e32 v4, v3
	v_mad_u64_u32 v[4:5], s[2:3], v0, s3, v[4:5]
	v_mov_b32_e32 v3, v4
	v_add_co_u32_e32 v4, vcc, 1, v0
	v_addc_co_u32_e64 v0, s[2:3], 0, 0, vcc
	v_cvt_f64_u32_e32 v[0:1], v0
	v_ldexp_f64 v[0:1], v[0:1], 32
	v_cvt_f64_u32_e32 v[4:5], v4
	v_lshlrev_b64 v[2:3], 3, v[2:3]
	v_add_f64 v[0:1], v[0:1], v[4:5]
	v_mov_b32_e32 v4, s1
	v_add_co_u32_e32 v2, vcc, s0, v2
	v_addc_co_u32_e32 v3, vcc, v4, v3, vcc
	global_store_dwordx2 v[2:3], v[0:1], off
.LBB0_2:
	s_endpgm
	.section	.rodata,"a",@progbits
	.p2align	6, 0x0
	.amdhsa_kernel _Z10initrdata1Pdmm
		.amdhsa_group_segment_fixed_size 0
		.amdhsa_private_segment_fixed_size 0
		.amdhsa_kernarg_size 280
		.amdhsa_user_sgpr_count 6
		.amdhsa_user_sgpr_private_segment_buffer 1
		.amdhsa_user_sgpr_dispatch_ptr 0
		.amdhsa_user_sgpr_queue_ptr 0
		.amdhsa_user_sgpr_kernarg_segment_ptr 1
		.amdhsa_user_sgpr_dispatch_id 0
		.amdhsa_user_sgpr_flat_scratch_init 0
		.amdhsa_user_sgpr_kernarg_preload_length 0
		.amdhsa_user_sgpr_kernarg_preload_offset 0
		.amdhsa_user_sgpr_private_segment_size 0
		.amdhsa_uses_dynamic_stack 0
		.amdhsa_system_sgpr_private_segment_wavefront_offset 0
		.amdhsa_system_sgpr_workgroup_id_x 1
		.amdhsa_system_sgpr_workgroup_id_y 0
		.amdhsa_system_sgpr_workgroup_id_z 0
		.amdhsa_system_sgpr_workgroup_info 0
		.amdhsa_system_vgpr_workitem_id 0
		.amdhsa_next_free_vgpr 6
		.amdhsa_next_free_sgpr 8
		.amdhsa_accum_offset 8
		.amdhsa_reserve_vcc 1
		.amdhsa_reserve_flat_scratch 0
		.amdhsa_float_round_mode_32 0
		.amdhsa_float_round_mode_16_64 0
		.amdhsa_float_denorm_mode_32 3
		.amdhsa_float_denorm_mode_16_64 3
		.amdhsa_dx10_clamp 1
		.amdhsa_ieee_mode 1
		.amdhsa_fp16_overflow 0
		.amdhsa_tg_split 0
		.amdhsa_exception_fp_ieee_invalid_op 0
		.amdhsa_exception_fp_denorm_src 0
		.amdhsa_exception_fp_ieee_div_zero 0
		.amdhsa_exception_fp_ieee_overflow 0
		.amdhsa_exception_fp_ieee_underflow 0
		.amdhsa_exception_fp_ieee_inexact 0
		.amdhsa_exception_int_div_zero 0
	.end_amdhsa_kernel
	.text
.Lfunc_end0:
	.size	_Z10initrdata1Pdmm, .Lfunc_end0-_Z10initrdata1Pdmm
                                        ; -- End function
	.section	.AMDGPU.csdata,"",@progbits
; Kernel info:
; codeLenInByte = 156
; NumSgprs: 12
; NumVgprs: 6
; NumAgprs: 0
; TotalNumVgprs: 6
; ScratchSize: 0
; MemoryBound: 0
; FloatMode: 240
; IeeeMode: 1
; LDSByteSize: 0 bytes/workgroup (compile time only)
; SGPRBlocks: 1
; VGPRBlocks: 0
; NumSGPRsForWavesPerEU: 12
; NumVGPRsForWavesPerEU: 6
; AccumOffset: 8
; Occupancy: 8
; WaveLimiterHint : 0
; COMPUTE_PGM_RSRC2:SCRATCH_EN: 0
; COMPUTE_PGM_RSRC2:USER_SGPR: 6
; COMPUTE_PGM_RSRC2:TRAP_HANDLER: 0
; COMPUTE_PGM_RSRC2:TGID_X_EN: 1
; COMPUTE_PGM_RSRC2:TGID_Y_EN: 0
; COMPUTE_PGM_RSRC2:TGID_Z_EN: 0
; COMPUTE_PGM_RSRC2:TIDIG_COMP_CNT: 0
; COMPUTE_PGM_RSRC3_GFX90A:ACCUM_OFFSET: 1
; COMPUTE_PGM_RSRC3_GFX90A:TG_SPLIT: 0
	.text
	.protected	_Z10initrdata2Pdmmmm    ; -- Begin function _Z10initrdata2Pdmmmm
	.globl	_Z10initrdata2Pdmmmm
	.p2align	8
	.type	_Z10initrdata2Pdmmmm,@function
_Z10initrdata2Pdmmmm:                   ; @_Z10initrdata2Pdmmmm
; %bb.0:
	s_load_dword s0, s[4:5], 0x34
	s_load_dwordx8 s[8:15], s[4:5], 0x0
	v_and_b32_e32 v1, 0x3ff, v0
	v_mov_b32_e32 v3, 0
	v_bfe_u32 v0, v0, 10, 10
	s_waitcnt lgkmcnt(0)
	s_lshr_b32 s1, s0, 16
	s_and_b32 s0, s0, 0xffff
	s_mul_i32 s6, s6, s0
	s_mul_i32 s7, s7, s1
	v_add_u32_e32 v2, s6, v1
	v_add_u32_e32 v0, s7, v0
	v_mov_b32_e32 v1, v3
	v_cmp_gt_u64_e32 vcc, s[10:11], v[2:3]
	v_cmp_gt_u64_e64 s[0:1], s[12:13], v[0:1]
	s_and_b64 s[0:1], vcc, s[0:1]
	s_and_saveexec_b64 s[2:3], s[0:1]
	s_cbranch_execz .LBB1_2
; %bb.1:
	s_load_dwordx2 s[0:1], s[4:5], 0x20
	v_mad_u64_u32 v[4:5], s[2:3], v2, s14, 0
	v_mov_b32_e32 v6, v5
	v_mad_u64_u32 v[6:7], s[2:3], v2, s15, v[6:7]
	v_mov_b32_e32 v5, v6
	s_waitcnt lgkmcnt(0)
	v_mad_u64_u32 v[6:7], s[2:3], v0, s0, 0
	v_mov_b32_e32 v8, v7
	v_add_co_u32_e32 v2, vcc, v0, v2
	v_mad_u64_u32 v[8:9], s[0:1], v0, s1, v[8:9]
	v_addc_co_u32_e64 v0, s[0:1], 0, 0, vcc
	v_cvt_f64_u32_e32 v[0:1], v0
	v_ldexp_f64 v[0:1], v[0:1], 32
	v_cvt_f64_u32_e32 v[2:3], v2
	v_add_f64 v[0:1], v[0:1], v[2:3]
	v_lshlrev_b64 v[2:3], 3, v[4:5]
	v_mov_b32_e32 v7, v8
	v_mov_b32_e32 v4, s9
	v_add_co_u32_e32 v5, vcc, s8, v2
	v_addc_co_u32_e32 v4, vcc, v4, v3, vcc
	v_lshlrev_b64 v[2:3], 3, v[6:7]
	v_add_co_u32_e32 v2, vcc, v5, v2
	v_addc_co_u32_e32 v3, vcc, v4, v3, vcc
	global_store_dwordx2 v[2:3], v[0:1], off
.LBB1_2:
	s_endpgm
	.section	.rodata,"a",@progbits
	.p2align	6, 0x0
	.amdhsa_kernel _Z10initrdata2Pdmmmm
		.amdhsa_group_segment_fixed_size 0
		.amdhsa_private_segment_fixed_size 0
		.amdhsa_kernarg_size 296
		.amdhsa_user_sgpr_count 6
		.amdhsa_user_sgpr_private_segment_buffer 1
		.amdhsa_user_sgpr_dispatch_ptr 0
		.amdhsa_user_sgpr_queue_ptr 0
		.amdhsa_user_sgpr_kernarg_segment_ptr 1
		.amdhsa_user_sgpr_dispatch_id 0
		.amdhsa_user_sgpr_flat_scratch_init 0
		.amdhsa_user_sgpr_kernarg_preload_length 0
		.amdhsa_user_sgpr_kernarg_preload_offset 0
		.amdhsa_user_sgpr_private_segment_size 0
		.amdhsa_uses_dynamic_stack 0
		.amdhsa_system_sgpr_private_segment_wavefront_offset 0
		.amdhsa_system_sgpr_workgroup_id_x 1
		.amdhsa_system_sgpr_workgroup_id_y 1
		.amdhsa_system_sgpr_workgroup_id_z 0
		.amdhsa_system_sgpr_workgroup_info 0
		.amdhsa_system_vgpr_workitem_id 1
		.amdhsa_next_free_vgpr 10
		.amdhsa_next_free_sgpr 16
		.amdhsa_accum_offset 12
		.amdhsa_reserve_vcc 1
		.amdhsa_reserve_flat_scratch 0
		.amdhsa_float_round_mode_32 0
		.amdhsa_float_round_mode_16_64 0
		.amdhsa_float_denorm_mode_32 3
		.amdhsa_float_denorm_mode_16_64 3
		.amdhsa_dx10_clamp 1
		.amdhsa_ieee_mode 1
		.amdhsa_fp16_overflow 0
		.amdhsa_tg_split 0
		.amdhsa_exception_fp_ieee_invalid_op 0
		.amdhsa_exception_fp_denorm_src 0
		.amdhsa_exception_fp_ieee_div_zero 0
		.amdhsa_exception_fp_ieee_overflow 0
		.amdhsa_exception_fp_ieee_underflow 0
		.amdhsa_exception_fp_ieee_inexact 0
		.amdhsa_exception_int_div_zero 0
	.end_amdhsa_kernel
	.text
.Lfunc_end1:
	.size	_Z10initrdata2Pdmmmm, .Lfunc_end1-_Z10initrdata2Pdmmmm
                                        ; -- End function
	.section	.AMDGPU.csdata,"",@progbits
; Kernel info:
; codeLenInByte = 240
; NumSgprs: 20
; NumVgprs: 10
; NumAgprs: 0
; TotalNumVgprs: 10
; ScratchSize: 0
; MemoryBound: 0
; FloatMode: 240
; IeeeMode: 1
; LDSByteSize: 0 bytes/workgroup (compile time only)
; SGPRBlocks: 2
; VGPRBlocks: 1
; NumSGPRsForWavesPerEU: 20
; NumVGPRsForWavesPerEU: 10
; AccumOffset: 12
; Occupancy: 8
; WaveLimiterHint : 0
; COMPUTE_PGM_RSRC2:SCRATCH_EN: 0
; COMPUTE_PGM_RSRC2:USER_SGPR: 6
; COMPUTE_PGM_RSRC2:TRAP_HANDLER: 0
; COMPUTE_PGM_RSRC2:TGID_X_EN: 1
; COMPUTE_PGM_RSRC2:TGID_Y_EN: 1
; COMPUTE_PGM_RSRC2:TGID_Z_EN: 0
; COMPUTE_PGM_RSRC2:TIDIG_COMP_CNT: 1
; COMPUTE_PGM_RSRC3_GFX90A:ACCUM_OFFSET: 2
; COMPUTE_PGM_RSRC3_GFX90A:TG_SPLIT: 0
	.text
	.protected	_Z10initrdata3Pdmmmmmm  ; -- Begin function _Z10initrdata3Pdmmmmmm
	.globl	_Z10initrdata3Pdmmmmmm
	.p2align	8
	.type	_Z10initrdata3Pdmmmmmm,@function
_Z10initrdata3Pdmmmmmm:                 ; @_Z10initrdata3Pdmmmmmm
; %bb.0:
	s_load_dwordx2 s[0:1], s[4:5], 0x44
	s_load_dwordx8 s[12:19], s[4:5], 0x0
	v_and_b32_e32 v1, 0x3ff, v0
	v_mov_b32_e32 v3, 0
	v_mov_b32_e32 v5, v3
	s_waitcnt lgkmcnt(0)
	s_lshr_b32 s2, s0, 16
	s_and_b32 s0, s0, 0xffff
	s_mul_i32 s6, s6, s0
	s_and_b32 s1, s1, 0xffff
	v_add_u32_e32 v2, s6, v1
	s_mul_i32 s7, s7, s2
	v_bfe_u32 v1, v0, 10, 10
	v_add_u32_e32 v4, s7, v1
	s_mul_i32 s8, s8, s1
	v_bfe_u32 v0, v0, 20, 10
	v_add_u32_e32 v0, s8, v0
	v_mov_b32_e32 v1, v3
	v_cmp_gt_u64_e32 vcc, s[14:15], v[2:3]
	v_cmp_gt_u64_e64 s[0:1], s[16:17], v[4:5]
	s_and_b64 s[0:1], vcc, s[0:1]
	v_cmp_gt_u64_e32 vcc, s[18:19], v[0:1]
	s_and_b64 s[0:1], s[0:1], vcc
	s_and_saveexec_b64 s[2:3], s[0:1]
	s_cbranch_execz .LBB2_14
; %bb.1:
	v_add_co_u32_e32 v1, vcc, 2, v2
	v_addc_co_u32_e64 v3, s[0:1], 0, 0, vcc
	v_cvt_f64_u32_e32 v[6:7], v3
	v_ldexp_f64 v[6:7], v[6:7], 32
	v_cvt_f64_u32_e32 v[8:9], v1
	s_mov_b32 s0, 0x3ffffffd
	v_add_f64 v[10:11], v[6:7], v[8:9]
	v_cmp_lt_u32_e32 vcc, s0, v2
                                        ; implicit-def: $vgpr1
                                        ; implicit-def: $vgpr6_vgpr7
                                        ; implicit-def: $vgpr8_vgpr9
	s_and_saveexec_b64 s[0:1], vcc
	s_xor_b64 s[2:3], exec, s[0:1]
	s_cbranch_execz .LBB2_3
; %bb.2:
	v_trig_preop_f64 v[6:7], v[10:11], 0
	v_trig_preop_f64 v[8:9], v[10:11], 1
	v_mul_f64 v[14:15], v[6:7], v[10:11]
	v_mul_f64 v[12:13], v[8:9], v[10:11]
	v_fma_f64 v[6:7], v[6:7], v[10:11], -v[14:15]
	v_add_f64 v[16:17], v[12:13], v[6:7]
	v_add_f64 v[18:19], v[14:15], v[16:17]
	s_mov_b32 s0, 0
	v_ldexp_f64 v[20:21], v[18:19], -2
	s_mov_b32 s1, 0x7ff00000
	v_fract_f64_e32 v[22:23], v[20:21]
	v_cmp_neq_f64_e64 vcc, |v[20:21]|, s[0:1]
	v_cndmask_b32_e32 v21, 0, v23, vcc
	v_cndmask_b32_e32 v20, 0, v22, vcc
	v_add_f64 v[22:23], v[16:17], -v[12:13]
	v_add_f64 v[6:7], v[6:7], -v[22:23]
	;; [unrolled: 1-line block ×4, first 2 shown]
	v_fma_f64 v[8:9], v[8:9], v[10:11], -v[12:13]
	v_trig_preop_f64 v[12:13], v[10:11], 2
	v_add_f64 v[6:7], v[6:7], v[22:23]
	v_mul_f64 v[22:23], v[12:13], v[10:11]
	v_add_f64 v[26:27], v[22:23], v[8:9]
	v_add_f64 v[28:29], v[26:27], v[6:7]
	v_add_f64 v[14:15], v[18:19], -v[14:15]
	v_add_f64 v[18:19], v[28:29], -v[26:27]
	;; [unrolled: 1-line block ×5, first 2 shown]
	v_add_f64 v[6:7], v[6:7], v[18:19]
	v_add_f64 v[18:19], v[26:27], -v[22:23]
	v_add_f64 v[8:9], v[8:9], -v[18:19]
	;; [unrolled: 1-line block ×4, first 2 shown]
	v_add_f64 v[8:9], v[8:9], v[18:19]
	v_add_f64 v[14:15], v[16:17], -v[14:15]
	v_add_f64 v[6:7], v[8:9], v[6:7]
	v_fma_f64 v[8:9], v[12:13], v[10:11], -v[22:23]
	v_add_f64 v[16:17], v[14:15], v[28:29]
	v_add_f64 v[6:7], v[8:9], v[6:7]
	v_ldexp_f64 v[8:9], v[20:21], 2
	v_add_f64 v[10:11], v[16:17], v[8:9]
	v_mov_b32_e32 v1, 0x40100000
	v_cmp_gt_f64_e32 vcc, 0, v[10:11]
	v_mov_b32_e32 v24, 0
	v_cndmask_b32_e32 v25, 0, v1, vcc
	v_add_f64 v[8:9], v[8:9], v[24:25]
	v_add_f64 v[10:11], v[16:17], v[8:9]
	v_cvt_i32_f64_e32 v1, v[10:11]
	v_cvt_f64_i32_e32 v[10:11], v1
	v_add_f64 v[8:9], v[8:9], -v[10:11]
	v_add_f64 v[14:15], v[16:17], -v[14:15]
	v_add_f64 v[10:11], v[16:17], v[8:9]
	v_add_f64 v[14:15], v[28:29], -v[14:15]
	v_add_f64 v[8:9], v[10:11], -v[8:9]
	v_cmp_le_f64_e32 vcc, 0.5, v[10:11]
	v_mov_b32_e32 v3, 0x3ff00000
	v_add_f64 v[6:7], v[14:15], v[6:7]
	v_add_f64 v[8:9], v[16:17], -v[8:9]
	v_cndmask_b32_e32 v25, 0, v3, vcc
	v_add_f64 v[6:7], v[6:7], v[8:9]
	v_addc_co_u32_e64 v1, s[0:1], 0, v1, vcc
	v_add_f64 v[8:9], v[10:11], -v[24:25]
	v_add_f64 v[10:11], v[8:9], v[6:7]
	s_mov_b32 s0, 0x54442d18
	v_add_f64 v[8:9], v[10:11], -v[8:9]
	s_mov_b32 s1, 0x3ff921fb
	v_add_f64 v[6:7], v[6:7], -v[8:9]
	v_mul_f64 v[8:9], v[10:11], s[0:1]
	s_mov_b32 s6, 0x33145c07
	v_fma_f64 v[12:13], v[10:11], s[0:1], -v[8:9]
	s_mov_b32 s7, 0x3c91a626
	v_fmac_f64_e32 v[12:13], s[6:7], v[10:11]
	v_fmac_f64_e32 v[12:13], s[0:1], v[6:7]
	v_add_f64 v[6:7], v[8:9], v[12:13]
	v_add_f64 v[8:9], v[6:7], -v[8:9]
	v_add_f64 v[8:9], v[12:13], -v[8:9]
                                        ; implicit-def: $vgpr10_vgpr11
.LBB2_3:
	s_andn2_saveexec_b64 s[0:1], s[2:3]
	s_cbranch_execz .LBB2_5
; %bb.4:
	s_mov_b32 s2, 0x6dc9c883
	s_mov_b32 s3, 0x3fe45f30
	v_mul_f64 v[6:7], v[10:11], s[2:3]
	s_mov_b32 s2, 0x54442d18
	v_rndne_f64_e32 v[12:13], v[6:7]
	s_mov_b32 s3, 0xbff921fb
	v_fmac_f64_e32 v[10:11], s[2:3], v[12:13]
	s_mov_b32 s3, 0xbc91a626
	s_mov_b32 s2, 0x33145c00
	v_mul_f64 v[6:7], v[12:13], s[2:3]
	v_add_f64 v[16:17], v[10:11], v[6:7]
	v_fma_f64 v[8:9], s[2:3], v[12:13], v[10:11]
	s_mov_b32 s3, 0x3c91a626
	v_add_f64 v[10:11], v[10:11], -v[16:17]
	v_fma_f64 v[14:15], s[2:3], v[12:13], v[6:7]
	v_add_f64 v[6:7], v[10:11], v[6:7]
	v_add_f64 v[10:11], v[16:17], -v[8:9]
	v_add_f64 v[6:7], v[10:11], v[6:7]
	s_mov_b32 s2, 0x252049c0
	v_add_f64 v[10:11], v[6:7], -v[14:15]
	s_mov_b32 s3, 0xb97b839a
	v_fmac_f64_e32 v[10:11], s[2:3], v[12:13]
	v_add_f64 v[6:7], v[8:9], v[10:11]
	v_add_f64 v[8:9], v[6:7], -v[8:9]
	v_add_f64 v[8:9], v[10:11], -v[8:9]
	v_cvt_i32_f64_e32 v1, v[12:13]
.LBB2_5:
	s_or_b64 exec, exec, s[0:1]
	s_mov_b32 s0, 0x46cc5e42
	v_mul_f64 v[10:11], v[6:7], v[6:7]
	v_mov_b32_e32 v18, 0x9037ab78
	v_mov_b32_e32 v19, 0x3e21eeb6
	s_mov_b32 s1, 0xbda907db
	v_mul_f64 v[12:13], v[10:11], 0.5
	v_fmac_f64_e32 v[18:19], s[0:1], v[10:11]
	v_mov_b32_e32 v20, 0xa17f65f6
	v_mov_b32_e32 v21, 0xbe927e4f
	v_add_f64 v[14:15], -v[12:13], 1.0
	v_fmac_f64_e32 v[20:21], v[10:11], v[18:19]
	v_mov_b32_e32 v18, 0x19f4ec90
	v_mov_b32_e32 v19, 0x3efa01a0
	v_add_f64 v[16:17], -v[14:15], 1.0
	v_fmac_f64_e32 v[18:19], v[10:11], v[20:21]
	v_mov_b32_e32 v20, 0x16c16967
	v_mov_b32_e32 v21, 0xbf56c16c
	v_add_f64 v[12:13], v[16:17], -v[12:13]
	v_fmac_f64_e32 v[20:21], v[10:11], v[18:19]
	v_mov_b32_e32 v18, 0x55555555
	v_mov_b32_e32 v19, 0x3fa55555
	v_mul_f64 v[16:17], v[10:11], v[10:11]
	v_fmac_f64_e32 v[18:19], v[10:11], v[20:21]
	v_fma_f64 v[12:13], v[6:7], -v[8:9], v[12:13]
	v_fmac_f64_e32 v[12:13], v[16:17], v[18:19]
	s_mov_b32 s2, 0xf9a43bb8
	v_add_f64 v[12:13], v[14:15], v[12:13]
	v_mov_b32_e32 v14, 0xb42fdfa7
	v_mov_b32_e32 v15, 0xbe5ae600
	s_mov_b32 s3, 0x3de5e0b2
	v_fmac_f64_e32 v[14:15], s[2:3], v[10:11]
	v_mov_b32_e32 v16, 0x796cde01
	v_mov_b32_e32 v17, 0x3ec71de3
	v_fmac_f64_e32 v[16:17], v[10:11], v[14:15]
	v_mov_b32_e32 v14, 0x19e83e5c
	v_mov_b32_e32 v15, 0xbf2a01a0
	;; [unrolled: 3-line block ×3, first 2 shown]
	v_fmac_f64_e32 v[16:17], v[10:11], v[14:15]
	v_mul_f64 v[14:15], v[6:7], -v[10:11]
	v_mul_f64 v[18:19], v[8:9], 0.5
	s_mov_b32 s0, 0x55555555
	v_fmac_f64_e32 v[18:19], v[14:15], v[16:17]
	s_mov_b32 s1, 0xbfc55555
	v_fma_f64 v[8:9], v[10:11], v[18:19], -v[8:9]
	v_fmac_f64_e32 v[8:9], s[0:1], v[14:15]
	v_add_f64 v[6:7], v[6:7], -v[8:9]
	v_and_b32_e32 v5, 1, v1
	v_xor_b32_e32 v3, 0x80000000, v7
	v_cmp_eq_u32_e32 vcc, 0, v5
	v_lshlrev_b32_e32 v1, 30, v1
	v_cndmask_b32_e32 v3, v3, v13, vcc
	v_and_b32_e32 v1, 0x80000000, v1
	s_mov_b32 s0, 0
	v_cndmask_b32_e32 v6, v6, v12, vcc
	v_xor_b32_e32 v7, v3, v1
	s_mov_b32 s1, 0x41d00000
	v_cmp_nlt_f64_e64 s[0:1], |v[6:7]|, s[0:1]
                                        ; implicit-def: $vgpr1
                                        ; implicit-def: $vgpr10_vgpr11
                                        ; implicit-def: $vgpr12_vgpr13
	s_and_saveexec_b64 s[2:3], s[0:1]
	s_xor_b64 s[2:3], exec, s[2:3]
	s_cbranch_execz .LBB2_7
; %bb.6:
	s_mov_b32 s0, 0
	s_mov_b32 s1, 0x7b000000
	s_movk_i32 s6, 0xff80
	v_and_b32_e32 v1, 0x7fffffff, v7
	v_ldexp_f64 v[12:13], |v[6:7]|, s6
	v_cmp_ge_f64_e64 vcc, |v[6:7]|, s[0:1]
	v_trig_preop_f64 v[8:9], |v[6:7]|, 0
	v_cndmask_b32_e32 v13, v1, v13, vcc
	v_cndmask_b32_e32 v12, v6, v12, vcc
	v_trig_preop_f64 v[10:11], |v[6:7]|, 1
	v_mul_f64 v[16:17], v[8:9], v[12:13]
	v_mul_f64 v[14:15], v[10:11], v[12:13]
	v_fma_f64 v[8:9], v[8:9], v[12:13], -v[16:17]
	v_add_f64 v[18:19], v[14:15], v[8:9]
	v_add_f64 v[20:21], v[16:17], v[18:19]
	s_mov_b32 s0, 0
	v_ldexp_f64 v[22:23], v[20:21], -2
	s_mov_b32 s1, 0x7ff00000
	v_fract_f64_e32 v[24:25], v[22:23]
	v_cmp_neq_f64_e64 vcc, |v[22:23]|, s[0:1]
	v_cndmask_b32_e32 v23, 0, v25, vcc
	v_cndmask_b32_e32 v22, 0, v24, vcc
	v_add_f64 v[24:25], v[18:19], -v[14:15]
	v_add_f64 v[8:9], v[8:9], -v[24:25]
	;; [unrolled: 1-line block ×4, first 2 shown]
	v_fma_f64 v[10:11], v[10:11], v[12:13], -v[14:15]
	v_trig_preop_f64 v[14:15], |v[6:7]|, 2
	v_add_f64 v[8:9], v[8:9], v[24:25]
	v_mul_f64 v[24:25], v[14:15], v[12:13]
	v_add_f64 v[28:29], v[24:25], v[10:11]
	v_add_f64 v[30:31], v[28:29], v[8:9]
	v_add_f64 v[16:17], v[20:21], -v[16:17]
	v_add_f64 v[20:21], v[30:31], -v[28:29]
	;; [unrolled: 1-line block ×5, first 2 shown]
	v_add_f64 v[8:9], v[8:9], v[20:21]
	v_add_f64 v[20:21], v[28:29], -v[24:25]
	v_add_f64 v[10:11], v[10:11], -v[20:21]
	;; [unrolled: 1-line block ×4, first 2 shown]
	v_add_f64 v[10:11], v[10:11], v[20:21]
	v_add_f64 v[16:17], v[18:19], -v[16:17]
	v_add_f64 v[8:9], v[10:11], v[8:9]
	v_fma_f64 v[10:11], v[14:15], v[12:13], -v[24:25]
	v_add_f64 v[18:19], v[16:17], v[30:31]
	v_add_f64 v[8:9], v[10:11], v[8:9]
	v_ldexp_f64 v[10:11], v[22:23], 2
	v_add_f64 v[12:13], v[18:19], v[10:11]
	v_mov_b32_e32 v1, 0x40100000
	v_cmp_gt_f64_e32 vcc, 0, v[12:13]
	v_mov_b32_e32 v26, 0
	v_cndmask_b32_e32 v27, 0, v1, vcc
	v_add_f64 v[10:11], v[10:11], v[26:27]
	v_add_f64 v[12:13], v[18:19], v[10:11]
	v_cvt_i32_f64_e32 v1, v[12:13]
	v_cvt_f64_i32_e32 v[12:13], v1
	v_add_f64 v[10:11], v[10:11], -v[12:13]
	v_add_f64 v[16:17], v[18:19], -v[16:17]
	v_add_f64 v[12:13], v[18:19], v[10:11]
	v_add_f64 v[16:17], v[30:31], -v[16:17]
	v_add_f64 v[10:11], v[12:13], -v[10:11]
	v_cmp_le_f64_e32 vcc, 0.5, v[12:13]
	v_mov_b32_e32 v3, 0x3ff00000
	v_add_f64 v[8:9], v[16:17], v[8:9]
	v_add_f64 v[10:11], v[18:19], -v[10:11]
	v_addc_co_u32_e64 v1, s[0:1], 0, v1, vcc
	v_cndmask_b32_e32 v27, 0, v3, vcc
	v_add_f64 v[8:9], v[8:9], v[10:11]
	v_add_f64 v[10:11], v[12:13], -v[26:27]
	s_mov_b32 s0, 0x54442d18
	v_add_f64 v[12:13], v[10:11], v[8:9]
	s_mov_b32 s1, 0x3ff921fb
	v_mul_f64 v[14:15], v[12:13], s[0:1]
	s_mov_b32 s6, 0x33145c07
	v_add_f64 v[10:11], v[12:13], -v[10:11]
	v_fma_f64 v[16:17], v[12:13], s[0:1], -v[14:15]
	s_mov_b32 s7, 0x3c91a626
	v_add_f64 v[8:9], v[8:9], -v[10:11]
	v_fmac_f64_e32 v[16:17], s[6:7], v[12:13]
	v_fmac_f64_e32 v[16:17], s[0:1], v[8:9]
	v_add_f64 v[10:11], v[14:15], v[16:17]
	v_add_f64 v[8:9], v[10:11], -v[14:15]
	v_add_f64 v[12:13], v[16:17], -v[8:9]
.LBB2_7:
	s_or_saveexec_b64 s[0:1], s[2:3]
	s_load_dwordx8 s[4:11], s[4:5], 0x20
	s_xor_b64 exec, exec, s[0:1]
	s_cbranch_execz .LBB2_9
; %bb.8:
	s_mov_b32 s2, 0x6dc9c883
	s_mov_b32 s3, 0x3fe45f30
	v_mul_f64 v[8:9], |v[6:7]|, s[2:3]
	s_mov_b32 s2, 0x54442d18
	v_rndne_f64_e32 v[8:9], v[8:9]
	s_mov_b32 s3, 0xbff921fb
	v_fma_f64 v[10:11], v[8:9], s[2:3], |v[6:7]|
	s_mov_b32 s3, 0xbc91a626
	s_mov_b32 s2, 0x33145c00
	v_mul_f64 v[14:15], v[8:9], s[2:3]
	v_add_f64 v[18:19], v[10:11], v[14:15]
	v_fma_f64 v[12:13], s[2:3], v[8:9], v[10:11]
	s_mov_b32 s3, 0x3c91a626
	v_add_f64 v[10:11], v[10:11], -v[18:19]
	v_fma_f64 v[16:17], s[2:3], v[8:9], v[14:15]
	v_add_f64 v[10:11], v[10:11], v[14:15]
	v_add_f64 v[14:15], v[18:19], -v[12:13]
	v_add_f64 v[10:11], v[14:15], v[10:11]
	s_mov_b32 s2, 0x252049c0
	v_add_f64 v[14:15], v[10:11], -v[16:17]
	s_mov_b32 s3, 0xb97b839a
	v_fmac_f64_e32 v[14:15], s[2:3], v[8:9]
	v_add_f64 v[10:11], v[12:13], v[14:15]
	v_add_f64 v[12:13], v[10:11], -v[12:13]
	v_add_f64 v[12:13], v[14:15], -v[12:13]
	v_cvt_i32_f64_e32 v1, v[8:9]
.LBB2_9:
	s_or_b64 exec, exec, s[0:1]
	v_mad_u64_u32 v[8:9], s[0:1], v4, v4, 1
	v_mad_u64_u32 v[14:15], s[0:1], v4, v4, 0
	v_cvt_f64_u32_e32 v[16:17], v9
	v_ldexp_f64 v[16:17], v[16:17], 32
	v_cvt_f64_u32_e32 v[8:9], v8
	s_mov_b64 s[0:1], 0x3ffffffe
	v_add_f64 v[8:9], v[16:17], v[8:9]
	v_cmp_lt_u64_e32 vcc, s[0:1], v[14:15]
                                        ; implicit-def: $vgpr3
                                        ; implicit-def: $vgpr14_vgpr15
                                        ; implicit-def: $vgpr16_vgpr17
	s_and_saveexec_b64 s[0:1], vcc
	s_xor_b64 s[2:3], exec, s[0:1]
	s_cbranch_execz .LBB2_11
; %bb.10:
	v_trig_preop_f64 v[14:15], v[8:9], 0
	v_trig_preop_f64 v[16:17], v[8:9], 1
	v_mul_f64 v[20:21], v[14:15], v[8:9]
	v_mul_f64 v[18:19], v[16:17], v[8:9]
	v_fma_f64 v[14:15], v[14:15], v[8:9], -v[20:21]
	v_add_f64 v[22:23], v[18:19], v[14:15]
	v_add_f64 v[24:25], v[20:21], v[22:23]
	s_mov_b32 s0, 0
	v_ldexp_f64 v[26:27], v[24:25], -2
	s_mov_b32 s1, 0x7ff00000
	v_fract_f64_e32 v[28:29], v[26:27]
	v_cmp_neq_f64_e64 vcc, |v[26:27]|, s[0:1]
	v_cndmask_b32_e32 v27, 0, v29, vcc
	v_cndmask_b32_e32 v26, 0, v28, vcc
	v_add_f64 v[28:29], v[22:23], -v[18:19]
	v_add_f64 v[14:15], v[14:15], -v[28:29]
	;; [unrolled: 1-line block ×4, first 2 shown]
	v_fma_f64 v[16:17], v[16:17], v[8:9], -v[18:19]
	v_trig_preop_f64 v[18:19], v[8:9], 2
	v_add_f64 v[14:15], v[14:15], v[28:29]
	v_mul_f64 v[28:29], v[18:19], v[8:9]
	v_add_f64 v[32:33], v[28:29], v[16:17]
	v_add_f64 v[34:35], v[32:33], v[14:15]
	v_add_f64 v[20:21], v[24:25], -v[20:21]
	v_add_f64 v[24:25], v[34:35], -v[32:33]
	;; [unrolled: 1-line block ×5, first 2 shown]
	v_add_f64 v[14:15], v[14:15], v[24:25]
	v_add_f64 v[24:25], v[32:33], -v[28:29]
	v_add_f64 v[16:17], v[16:17], -v[24:25]
	;; [unrolled: 1-line block ×4, first 2 shown]
	v_add_f64 v[16:17], v[16:17], v[24:25]
	v_add_f64 v[20:21], v[22:23], -v[20:21]
	v_add_f64 v[14:15], v[16:17], v[14:15]
	v_fma_f64 v[16:17], v[18:19], v[8:9], -v[28:29]
	v_add_f64 v[22:23], v[20:21], v[34:35]
	v_add_f64 v[14:15], v[16:17], v[14:15]
	v_ldexp_f64 v[16:17], v[26:27], 2
	v_add_f64 v[18:19], v[22:23], v[16:17]
	v_mov_b32_e32 v3, 0x40100000
	v_cmp_gt_f64_e32 vcc, 0, v[18:19]
	v_mov_b32_e32 v30, 0
	v_cndmask_b32_e32 v31, 0, v3, vcc
	v_add_f64 v[16:17], v[16:17], v[30:31]
	v_add_f64 v[18:19], v[22:23], v[16:17]
	v_cvt_i32_f64_e32 v3, v[18:19]
	v_cvt_f64_i32_e32 v[18:19], v3
	v_add_f64 v[16:17], v[16:17], -v[18:19]
	v_add_f64 v[20:21], v[22:23], -v[20:21]
	v_add_f64 v[18:19], v[22:23], v[16:17]
	v_add_f64 v[20:21], v[34:35], -v[20:21]
	v_add_f64 v[16:17], v[18:19], -v[16:17]
	v_cmp_le_f64_e32 vcc, 0.5, v[18:19]
	v_mov_b32_e32 v5, 0x3ff00000
	v_add_f64 v[14:15], v[20:21], v[14:15]
	v_add_f64 v[16:17], v[22:23], -v[16:17]
	v_cndmask_b32_e32 v31, 0, v5, vcc
	v_add_f64 v[14:15], v[14:15], v[16:17]
	v_addc_co_u32_e64 v3, s[0:1], 0, v3, vcc
	v_add_f64 v[16:17], v[18:19], -v[30:31]
	v_add_f64 v[18:19], v[16:17], v[14:15]
	s_mov_b32 s0, 0x54442d18
	v_add_f64 v[16:17], v[18:19], -v[16:17]
	s_mov_b32 s1, 0x3ff921fb
	v_add_f64 v[14:15], v[14:15], -v[16:17]
	v_mul_f64 v[16:17], v[18:19], s[0:1]
	s_waitcnt lgkmcnt(0)
	s_mov_b32 s10, 0x33145c07
	v_fma_f64 v[20:21], v[18:19], s[0:1], -v[16:17]
	s_mov_b32 s11, 0x3c91a626
	v_fmac_f64_e32 v[20:21], s[10:11], v[18:19]
	v_fmac_f64_e32 v[20:21], s[0:1], v[14:15]
	v_add_f64 v[14:15], v[16:17], v[20:21]
	v_add_f64 v[16:17], v[14:15], -v[16:17]
	v_add_f64 v[16:17], v[20:21], -v[16:17]
.LBB2_11:
	s_andn2_saveexec_b64 s[0:1], s[2:3]
	s_cbranch_execz .LBB2_13
; %bb.12:
	s_mov_b32 s2, 0x6dc9c883
	s_mov_b32 s3, 0x3fe45f30
	v_mul_f64 v[14:15], v[8:9], s[2:3]
	s_mov_b32 s2, 0x54442d18
	v_rndne_f64_e32 v[18:19], v[14:15]
	s_mov_b32 s3, 0xbff921fb
	v_fma_f64 v[14:15], s[2:3], v[18:19], v[8:9]
	s_mov_b32 s3, 0xbc91a626
	s_mov_b32 s2, 0x33145c00
	v_mul_f64 v[20:21], v[18:19], s[2:3]
	v_add_f64 v[24:25], v[14:15], v[20:21]
	v_fma_f64 v[16:17], s[2:3], v[18:19], v[14:15]
	s_mov_b32 s3, 0x3c91a626
	v_add_f64 v[14:15], v[14:15], -v[24:25]
	v_fma_f64 v[22:23], s[2:3], v[18:19], v[20:21]
	v_add_f64 v[14:15], v[14:15], v[20:21]
	v_add_f64 v[20:21], v[24:25], -v[16:17]
	v_add_f64 v[14:15], v[20:21], v[14:15]
	s_mov_b32 s2, 0x252049c0
	v_add_f64 v[20:21], v[14:15], -v[22:23]
	s_mov_b32 s3, 0xb97b839a
	v_fmac_f64_e32 v[20:21], s[2:3], v[18:19]
	v_add_f64 v[14:15], v[16:17], v[20:21]
	v_add_f64 v[16:17], v[14:15], -v[16:17]
	v_add_f64 v[16:17], v[20:21], -v[16:17]
	v_cvt_i32_f64_e32 v3, v[18:19]
.LBB2_13:
	s_or_b64 exec, exec, s[0:1]
	s_mov_b32 s2, 0x9037ab78
	s_mov_b32 s3, 0x3e21eeb6
	;; [unrolled: 1-line block ×3, first 2 shown]
	v_mul_f64 v[18:19], v[10:11], v[10:11]
	s_mov_b32 s1, 0xbda907db
	v_pk_mov_b32 v[26:27], s[2:3], s[2:3] op_sel:[0,1]
	s_mov_b32 s2, 0xa17f65f6
	v_mul_f64 v[20:21], v[18:19], 0.5
	v_fma_f64 v[28:29], s[0:1], v[18:19], v[26:27]
	s_mov_b32 s3, 0xbe927e4f
	s_waitcnt lgkmcnt(0)
	s_mov_b32 s10, 0x19f4ec90
	v_add_f64 v[22:23], -v[20:21], 1.0
	v_fma_f64 v[28:29], v[18:19], v[28:29], s[2:3]
	s_mov_b32 s11, 0x3efa01a0
	s_mov_b32 s14, 0x16c16967
	v_add_f64 v[24:25], -v[22:23], 1.0
	v_fma_f64 v[28:29], v[18:19], v[28:29], s[10:11]
	s_mov_b32 s15, 0xbf56c16c
	s_mov_b32 s16, 0x55555555
	v_add_f64 v[20:21], v[24:25], -v[20:21]
	v_fma_f64 v[28:29], v[18:19], v[28:29], s[14:15]
	s_mov_b32 s17, 0x3fa55555
	v_mul_f64 v[24:25], v[18:19], v[18:19]
	v_fma_f64 v[28:29], v[18:19], v[28:29], s[16:17]
	v_fma_f64 v[20:21], v[10:11], -v[12:13], v[20:21]
	s_mov_b32 s18, 0xb42fdfa7
	v_fmac_f64_e32 v[20:21], v[24:25], v[28:29]
	s_mov_b32 s19, 0xbe5ae600
	s_mov_b32 s20, 0xf9a43bb8
	v_add_f64 v[20:21], v[22:23], v[20:21]
	s_mov_b32 s21, 0x3de5e0b2
	v_pk_mov_b32 v[22:23], s[18:19], s[18:19] op_sel:[0,1]
	s_mov_b32 s18, 0x796cde01
	v_fma_f64 v[24:25], s[20:21], v[18:19], v[22:23]
	s_mov_b32 s19, 0x3ec71de3
	s_mov_b32 s22, 0x19e83e5c
	v_fma_f64 v[24:25], v[18:19], v[24:25], s[18:19]
	s_mov_b32 s23, 0xbf2a01a0
	;; [unrolled: 3-line block ×3, first 2 shown]
	v_fma_f64 v[24:25], v[18:19], v[24:25], s[24:25]
	v_mul_f64 v[28:29], v[10:11], -v[18:19]
	v_mul_f64 v[30:31], v[12:13], 0.5
	v_fmac_f64_e32 v[30:31], v[28:29], v[24:25]
	v_fma_f64 v[12:13], v[18:19], v[30:31], -v[12:13]
	s_mov_b32 s27, 0xbfc55555
	s_mov_b32 s26, s16
	v_fmac_f64_e32 v[12:13], s[26:27], v[28:29]
	v_add_f64 v[10:11], v[10:11], -v[12:13]
	v_and_b32_e32 v8, 1, v1
	v_xor_b32_e32 v5, 0x80000000, v11
	v_cmp_eq_u32_e32 vcc, 0, v8
	v_mul_f64 v[18:19], v[14:15], v[14:15]
	v_cndmask_b32_e32 v8, v10, v20, vcc
	v_cndmask_b32_e32 v5, v5, v21, vcc
	v_mul_f64 v[20:21], v[18:19], 0.5
	v_fmac_f64_e32 v[26:27], s[0:1], v[18:19]
	v_add_f64 v[24:25], -v[20:21], 1.0
	v_fma_f64 v[26:27], v[18:19], v[26:27], s[2:3]
	v_add_f64 v[28:29], -v[24:25], 1.0
	v_fma_f64 v[26:27], v[18:19], v[26:27], s[10:11]
	s_movk_i32 s28, 0x1f8
	v_add_f64 v[20:21], v[28:29], -v[20:21]
	v_fma_f64 v[26:27], v[18:19], v[26:27], s[14:15]
	v_fmac_f64_e32 v[22:23], s[20:21], v[18:19]
	v_cmp_class_f64_e64 vcc, v[6:7], s28
	v_mad_u64_u32 v[10:11], s[28:29], v2, s4, 0
	v_mul_f64 v[28:29], v[18:19], v[18:19]
	v_fma_f64 v[26:27], v[18:19], v[26:27], s[16:17]
	v_fma_f64 v[20:21], v[14:15], -v[16:17], v[20:21]
	v_fma_f64 v[22:23], v[18:19], v[22:23], s[18:19]
	v_cndmask_b32_e32 v6, 0, v8, vcc
	v_mov_b32_e32 v8, v11
	v_fmac_f64_e32 v[20:21], v[28:29], v[26:27]
	v_fma_f64 v[22:23], v[18:19], v[22:23], s[22:23]
	v_lshlrev_b32_e32 v1, 30, v1
	v_mad_u64_u32 v[12:13], s[4:5], v2, s5, v[8:9]
	v_add_f64 v[20:21], v[24:25], v[20:21]
	v_fma_f64 v[22:23], v[18:19], v[22:23], s[24:25]
	v_mul_f64 v[24:25], v[14:15], -v[18:19]
	v_mul_f64 v[26:27], v[16:17], 0.5
	v_and_b32_e32 v1, 0x80000000, v1
	v_mov_b32_e32 v11, v12
	v_mad_u64_u32 v[12:13], s[4:5], v4, s6, 0
	v_fmac_f64_e32 v[26:27], v[24:25], v[22:23]
	v_xor_b32_e32 v1, v5, v1
	v_mov_b32_e32 v5, 0x7ff80000
	v_mov_b32_e32 v2, v13
	v_fma_f64 v[16:17], v[18:19], v[26:27], -v[16:17]
	v_cndmask_b32_e32 v7, v5, v1, vcc
	v_mad_u64_u32 v[4:5], s[4:5], v4, s7, v[2:3]
	v_fmac_f64_e32 v[16:17], s[26:27], v[24:25]
	v_and_b32_e32 v1, 1, v3
	v_lshlrev_b32_e32 v3, 30, v3
	v_add_f64 v[14:15], v[14:15], -v[16:17]
	v_cmp_eq_u32_e32 vcc, 0, v1
	v_xor_b32_e32 v3, v3, v9
	v_cndmask_b32_e32 v1, v21, v15, vcc
	v_and_b32_e32 v3, 0x80000000, v3
	v_cndmask_b32_e32 v8, v20, v14, vcc
	v_xor_b32_e32 v9, v1, v3
	v_add_co_u32_e32 v1, vcc, 1, v0
	v_addc_co_u32_e64 v3, s[0:1], 0, 0, vcc
	v_mul_f64 v[6:7], v[6:7], v[8:9]
	v_cvt_f64_u32_e32 v[8:9], v3
	v_ldexp_f64 v[8:9], v[8:9], 32
	v_cvt_f64_u32_e32 v[14:15], v1
	v_add_f64 v[8:9], v[8:9], v[14:15]
	v_div_scale_f64 v[14:15], s[0:1], v[8:9], v[8:9], v[6:7]
	v_rcp_f64_e32 v[16:17], v[14:15]
	v_mov_b32_e32 v13, v4
	v_mad_u64_u32 v[4:5], s[4:5], v0, s8, 0
	v_mov_b32_e32 v2, v5
	v_mad_u64_u32 v[0:1], s[0:1], v0, s9, v[2:3]
	v_mov_b32_e32 v5, v0
	v_fma_f64 v[0:1], -v[14:15], v[16:17], 1.0
	v_fmac_f64_e32 v[16:17], v[16:17], v[0:1]
	v_fma_f64 v[0:1], -v[14:15], v[16:17], 1.0
	v_fmac_f64_e32 v[16:17], v[16:17], v[0:1]
	v_div_scale_f64 v[0:1], vcc, v[6:7], v[8:9], v[6:7]
	v_mul_f64 v[2:3], v[0:1], v[16:17]
	v_fma_f64 v[0:1], -v[14:15], v[2:3], v[0:1]
	s_nop 1
	v_div_fmas_f64 v[0:1], v[0:1], v[16:17], v[2:3]
	v_lshlrev_b64 v[2:3], 3, v[10:11]
	v_div_fixup_f64 v[0:1], v[0:1], v[8:9], v[6:7]
	v_mov_b32_e32 v6, s13
	v_add_co_u32_e32 v7, vcc, s12, v2
	v_addc_co_u32_e32 v6, vcc, v6, v3, vcc
	v_lshlrev_b64 v[2:3], 3, v[12:13]
	v_add_co_u32_e32 v7, vcc, v7, v2
	v_addc_co_u32_e32 v6, vcc, v6, v3, vcc
	v_lshlrev_b64 v[2:3], 3, v[4:5]
	v_add_co_u32_e32 v2, vcc, v7, v2
	v_addc_co_u32_e32 v3, vcc, v6, v3, vcc
	global_store_dwordx2 v[2:3], v[0:1], off
.LBB2_14:
	s_endpgm
	.section	.rodata,"a",@progbits
	.p2align	6, 0x0
	.amdhsa_kernel _Z10initrdata3Pdmmmmmm
		.amdhsa_group_segment_fixed_size 0
		.amdhsa_private_segment_fixed_size 0
		.amdhsa_kernarg_size 312
		.amdhsa_user_sgpr_count 6
		.amdhsa_user_sgpr_private_segment_buffer 1
		.amdhsa_user_sgpr_dispatch_ptr 0
		.amdhsa_user_sgpr_queue_ptr 0
		.amdhsa_user_sgpr_kernarg_segment_ptr 1
		.amdhsa_user_sgpr_dispatch_id 0
		.amdhsa_user_sgpr_flat_scratch_init 0
		.amdhsa_user_sgpr_kernarg_preload_length 0
		.amdhsa_user_sgpr_kernarg_preload_offset 0
		.amdhsa_user_sgpr_private_segment_size 0
		.amdhsa_uses_dynamic_stack 0
		.amdhsa_system_sgpr_private_segment_wavefront_offset 0
		.amdhsa_system_sgpr_workgroup_id_x 1
		.amdhsa_system_sgpr_workgroup_id_y 1
		.amdhsa_system_sgpr_workgroup_id_z 1
		.amdhsa_system_sgpr_workgroup_info 0
		.amdhsa_system_vgpr_workitem_id 2
		.amdhsa_next_free_vgpr 36
		.amdhsa_next_free_sgpr 30
		.amdhsa_accum_offset 36
		.amdhsa_reserve_vcc 1
		.amdhsa_reserve_flat_scratch 0
		.amdhsa_float_round_mode_32 0
		.amdhsa_float_round_mode_16_64 0
		.amdhsa_float_denorm_mode_32 3
		.amdhsa_float_denorm_mode_16_64 3
		.amdhsa_dx10_clamp 1
		.amdhsa_ieee_mode 1
		.amdhsa_fp16_overflow 0
		.amdhsa_tg_split 0
		.amdhsa_exception_fp_ieee_invalid_op 0
		.amdhsa_exception_fp_denorm_src 0
		.amdhsa_exception_fp_ieee_div_zero 0
		.amdhsa_exception_fp_ieee_overflow 0
		.amdhsa_exception_fp_ieee_underflow 0
		.amdhsa_exception_fp_ieee_inexact 0
		.amdhsa_exception_int_div_zero 0
	.end_amdhsa_kernel
	.text
.Lfunc_end2:
	.size	_Z10initrdata3Pdmmmmmm, .Lfunc_end2-_Z10initrdata3Pdmmmmmm
                                        ; -- End function
	.section	.AMDGPU.csdata,"",@progbits
; Kernel info:
; codeLenInByte = 3964
; NumSgprs: 34
; NumVgprs: 36
; NumAgprs: 0
; TotalNumVgprs: 36
; ScratchSize: 0
; MemoryBound: 0
; FloatMode: 240
; IeeeMode: 1
; LDSByteSize: 0 bytes/workgroup (compile time only)
; SGPRBlocks: 4
; VGPRBlocks: 4
; NumSGPRsForWavesPerEU: 34
; NumVGPRsForWavesPerEU: 36
; AccumOffset: 36
; Occupancy: 8
; WaveLimiterHint : 0
; COMPUTE_PGM_RSRC2:SCRATCH_EN: 0
; COMPUTE_PGM_RSRC2:USER_SGPR: 6
; COMPUTE_PGM_RSRC2:TRAP_HANDLER: 0
; COMPUTE_PGM_RSRC2:TGID_X_EN: 1
; COMPUTE_PGM_RSRC2:TGID_Y_EN: 1
; COMPUTE_PGM_RSRC2:TGID_Z_EN: 1
; COMPUTE_PGM_RSRC2:TIDIG_COMP_CNT: 2
; COMPUTE_PGM_RSRC3_GFX90A:ACCUM_OFFSET: 8
; COMPUTE_PGM_RSRC3_GFX90A:TG_SPLIT: 0
	.text
	.protected	_Z10initcdata1P15HIP_vector_typeIdLj2EEmm ; -- Begin function _Z10initcdata1P15HIP_vector_typeIdLj2EEmm
	.globl	_Z10initcdata1P15HIP_vector_typeIdLj2EEmm
	.p2align	8
	.type	_Z10initcdata1P15HIP_vector_typeIdLj2EEmm,@function
_Z10initcdata1P15HIP_vector_typeIdLj2EEmm: ; @_Z10initcdata1P15HIP_vector_typeIdLj2EEmm
; %bb.0:
	s_load_dword s7, s[4:5], 0x24
	s_load_dwordx4 s[0:3], s[4:5], 0x0
	v_mov_b32_e32 v1, 0
	s_waitcnt lgkmcnt(0)
	s_and_b32 s7, s7, 0xffff
	s_mul_i32 s6, s6, s7
	v_add_u32_e32 v0, s6, v0
	v_cmp_gt_u64_e32 vcc, s[2:3], v[0:1]
	s_and_saveexec_b64 s[2:3], vcc
	s_cbranch_execz .LBB3_2
; %bb.1:
	s_load_dwordx2 s[2:3], s[4:5], 0x10
	s_waitcnt lgkmcnt(0)
	v_mad_u64_u32 v[2:3], s[4:5], v0, s2, 0
	v_mov_b32_e32 v4, v3
	v_mad_u64_u32 v[4:5], s[2:3], v0, s3, v[4:5]
	v_mov_b32_e32 v3, v4
	v_add_co_u32_e32 v4, vcc, 1, v0
	v_addc_co_u32_e64 v0, s[2:3], 0, 0, vcc
	v_cvt_f64_u32_e32 v[0:1], v0
	v_ldexp_f64 v[0:1], v[0:1], 32
	v_cvt_f64_u32_e32 v[4:5], v4
	v_lshlrev_b64 v[2:3], 4, v[2:3]
	v_add_f64 v[0:1], v[0:1], v[4:5]
	v_mov_b32_e32 v5, s1
	v_add_co_u32_e32 v4, vcc, s0, v2
	v_addc_co_u32_e32 v5, vcc, v5, v3, vcc
	v_mov_b32_e32 v2, v0
	v_mov_b32_e32 v3, v1
	global_store_dwordx4 v[4:5], v[0:3], off
.LBB3_2:
	s_endpgm
	.section	.rodata,"a",@progbits
	.p2align	6, 0x0
	.amdhsa_kernel _Z10initcdata1P15HIP_vector_typeIdLj2EEmm
		.amdhsa_group_segment_fixed_size 0
		.amdhsa_private_segment_fixed_size 0
		.amdhsa_kernarg_size 280
		.amdhsa_user_sgpr_count 6
		.amdhsa_user_sgpr_private_segment_buffer 1
		.amdhsa_user_sgpr_dispatch_ptr 0
		.amdhsa_user_sgpr_queue_ptr 0
		.amdhsa_user_sgpr_kernarg_segment_ptr 1
		.amdhsa_user_sgpr_dispatch_id 0
		.amdhsa_user_sgpr_flat_scratch_init 0
		.amdhsa_user_sgpr_kernarg_preload_length 0
		.amdhsa_user_sgpr_kernarg_preload_offset 0
		.amdhsa_user_sgpr_private_segment_size 0
		.amdhsa_uses_dynamic_stack 0
		.amdhsa_system_sgpr_private_segment_wavefront_offset 0
		.amdhsa_system_sgpr_workgroup_id_x 1
		.amdhsa_system_sgpr_workgroup_id_y 0
		.amdhsa_system_sgpr_workgroup_id_z 0
		.amdhsa_system_sgpr_workgroup_info 0
		.amdhsa_system_vgpr_workitem_id 0
		.amdhsa_next_free_vgpr 6
		.amdhsa_next_free_sgpr 8
		.amdhsa_accum_offset 8
		.amdhsa_reserve_vcc 1
		.amdhsa_reserve_flat_scratch 0
		.amdhsa_float_round_mode_32 0
		.amdhsa_float_round_mode_16_64 0
		.amdhsa_float_denorm_mode_32 3
		.amdhsa_float_denorm_mode_16_64 3
		.amdhsa_dx10_clamp 1
		.amdhsa_ieee_mode 1
		.amdhsa_fp16_overflow 0
		.amdhsa_tg_split 0
		.amdhsa_exception_fp_ieee_invalid_op 0
		.amdhsa_exception_fp_denorm_src 0
		.amdhsa_exception_fp_ieee_div_zero 0
		.amdhsa_exception_fp_ieee_overflow 0
		.amdhsa_exception_fp_ieee_underflow 0
		.amdhsa_exception_fp_ieee_inexact 0
		.amdhsa_exception_int_div_zero 0
	.end_amdhsa_kernel
	.text
.Lfunc_end3:
	.size	_Z10initcdata1P15HIP_vector_typeIdLj2EEmm, .Lfunc_end3-_Z10initcdata1P15HIP_vector_typeIdLj2EEmm
                                        ; -- End function
	.section	.AMDGPU.csdata,"",@progbits
; Kernel info:
; codeLenInByte = 164
; NumSgprs: 12
; NumVgprs: 6
; NumAgprs: 0
; TotalNumVgprs: 6
; ScratchSize: 0
; MemoryBound: 0
; FloatMode: 240
; IeeeMode: 1
; LDSByteSize: 0 bytes/workgroup (compile time only)
; SGPRBlocks: 1
; VGPRBlocks: 0
; NumSGPRsForWavesPerEU: 12
; NumVGPRsForWavesPerEU: 6
; AccumOffset: 8
; Occupancy: 8
; WaveLimiterHint : 0
; COMPUTE_PGM_RSRC2:SCRATCH_EN: 0
; COMPUTE_PGM_RSRC2:USER_SGPR: 6
; COMPUTE_PGM_RSRC2:TRAP_HANDLER: 0
; COMPUTE_PGM_RSRC2:TGID_X_EN: 1
; COMPUTE_PGM_RSRC2:TGID_Y_EN: 0
; COMPUTE_PGM_RSRC2:TGID_Z_EN: 0
; COMPUTE_PGM_RSRC2:TIDIG_COMP_CNT: 0
; COMPUTE_PGM_RSRC3_GFX90A:ACCUM_OFFSET: 1
; COMPUTE_PGM_RSRC3_GFX90A:TG_SPLIT: 0
	.text
	.protected	_Z10initcdata2P15HIP_vector_typeIdLj2EEmmmm ; -- Begin function _Z10initcdata2P15HIP_vector_typeIdLj2EEmmmm
	.globl	_Z10initcdata2P15HIP_vector_typeIdLj2EEmmmm
	.p2align	8
	.type	_Z10initcdata2P15HIP_vector_typeIdLj2EEmmmm,@function
_Z10initcdata2P15HIP_vector_typeIdLj2EEmmmm: ; @_Z10initcdata2P15HIP_vector_typeIdLj2EEmmmm
; %bb.0:
	s_load_dword s0, s[4:5], 0x34
	s_load_dwordx8 s[8:15], s[4:5], 0x0
	v_and_b32_e32 v1, 0x3ff, v0
	v_bfe_u32 v0, v0, 10, 10
	v_mov_b32_e32 v3, 0
	s_waitcnt lgkmcnt(0)
	s_lshr_b32 s1, s0, 16
	s_and_b32 s0, s0, 0xffff
	s_mul_i32 s6, s6, s0
	s_mul_i32 s7, s7, s1
	v_add_u32_e32 v2, s6, v1
	v_add_u32_e32 v0, s7, v0
	v_mov_b32_e32 v1, v3
	v_cmp_gt_u64_e32 vcc, s[10:11], v[2:3]
	v_cmp_gt_u64_e64 s[0:1], s[12:13], v[0:1]
	s_and_b64 s[0:1], vcc, s[0:1]
	s_and_saveexec_b64 s[2:3], s[0:1]
	s_cbranch_execz .LBB4_2
; %bb.1:
	s_load_dwordx2 s[0:1], s[4:5], 0x20
	v_mad_u64_u32 v[4:5], s[2:3], v2, s14, 0
	v_mov_b32_e32 v6, v5
	v_mad_u64_u32 v[6:7], s[2:3], v2, s15, v[6:7]
	v_mov_b32_e32 v5, v6
	s_waitcnt lgkmcnt(0)
	v_mad_u64_u32 v[6:7], s[2:3], v0, s0, 0
	v_mov_b32_e32 v8, v7
	v_mad_u64_u32 v[8:9], s[0:1], v0, s1, v[8:9]
	v_add_u32_e32 v1, 1, v2
	v_lshlrev_b64 v[4:5], 4, v[4:5]
	v_mov_b32_e32 v7, v8
	v_cvt_f64_u32_e32 v[2:3], v1
	v_mov_b32_e32 v1, s9
	v_add_co_u32_e32 v8, vcc, s8, v4
	v_addc_co_u32_e32 v1, vcc, v1, v5, vcc
	v_lshlrev_b64 v[4:5], 4, v[6:7]
	v_add_co_u32_e32 v6, vcc, v8, v4
	v_add_u32_e32 v0, 1, v0
	v_addc_co_u32_e32 v7, vcc, v1, v5, vcc
	v_cvt_f64_u32_e32 v[4:5], v0
	global_store_dwordx4 v[6:7], v[2:5], off
.LBB4_2:
	s_endpgm
	.section	.rodata,"a",@progbits
	.p2align	6, 0x0
	.amdhsa_kernel _Z10initcdata2P15HIP_vector_typeIdLj2EEmmmm
		.amdhsa_group_segment_fixed_size 0
		.amdhsa_private_segment_fixed_size 0
		.amdhsa_kernarg_size 296
		.amdhsa_user_sgpr_count 6
		.amdhsa_user_sgpr_private_segment_buffer 1
		.amdhsa_user_sgpr_dispatch_ptr 0
		.amdhsa_user_sgpr_queue_ptr 0
		.amdhsa_user_sgpr_kernarg_segment_ptr 1
		.amdhsa_user_sgpr_dispatch_id 0
		.amdhsa_user_sgpr_flat_scratch_init 0
		.amdhsa_user_sgpr_kernarg_preload_length 0
		.amdhsa_user_sgpr_kernarg_preload_offset 0
		.amdhsa_user_sgpr_private_segment_size 0
		.amdhsa_uses_dynamic_stack 0
		.amdhsa_system_sgpr_private_segment_wavefront_offset 0
		.amdhsa_system_sgpr_workgroup_id_x 1
		.amdhsa_system_sgpr_workgroup_id_y 1
		.amdhsa_system_sgpr_workgroup_id_z 0
		.amdhsa_system_sgpr_workgroup_info 0
		.amdhsa_system_vgpr_workitem_id 1
		.amdhsa_next_free_vgpr 10
		.amdhsa_next_free_sgpr 16
		.amdhsa_accum_offset 12
		.amdhsa_reserve_vcc 1
		.amdhsa_reserve_flat_scratch 0
		.amdhsa_float_round_mode_32 0
		.amdhsa_float_round_mode_16_64 0
		.amdhsa_float_denorm_mode_32 3
		.amdhsa_float_denorm_mode_16_64 3
		.amdhsa_dx10_clamp 1
		.amdhsa_ieee_mode 1
		.amdhsa_fp16_overflow 0
		.amdhsa_tg_split 0
		.amdhsa_exception_fp_ieee_invalid_op 0
		.amdhsa_exception_fp_denorm_src 0
		.amdhsa_exception_fp_ieee_div_zero 0
		.amdhsa_exception_fp_ieee_overflow 0
		.amdhsa_exception_fp_ieee_underflow 0
		.amdhsa_exception_fp_ieee_inexact 0
		.amdhsa_exception_int_div_zero 0
	.end_amdhsa_kernel
	.text
.Lfunc_end4:
	.size	_Z10initcdata2P15HIP_vector_typeIdLj2EEmmmm, .Lfunc_end4-_Z10initcdata2P15HIP_vector_typeIdLj2EEmmmm
                                        ; -- End function
	.section	.AMDGPU.csdata,"",@progbits
; Kernel info:
; codeLenInByte = 220
; NumSgprs: 20
; NumVgprs: 10
; NumAgprs: 0
; TotalNumVgprs: 10
; ScratchSize: 0
; MemoryBound: 0
; FloatMode: 240
; IeeeMode: 1
; LDSByteSize: 0 bytes/workgroup (compile time only)
; SGPRBlocks: 2
; VGPRBlocks: 1
; NumSGPRsForWavesPerEU: 20
; NumVGPRsForWavesPerEU: 10
; AccumOffset: 12
; Occupancy: 8
; WaveLimiterHint : 0
; COMPUTE_PGM_RSRC2:SCRATCH_EN: 0
; COMPUTE_PGM_RSRC2:USER_SGPR: 6
; COMPUTE_PGM_RSRC2:TRAP_HANDLER: 0
; COMPUTE_PGM_RSRC2:TGID_X_EN: 1
; COMPUTE_PGM_RSRC2:TGID_Y_EN: 1
; COMPUTE_PGM_RSRC2:TGID_Z_EN: 0
; COMPUTE_PGM_RSRC2:TIDIG_COMP_CNT: 1
; COMPUTE_PGM_RSRC3_GFX90A:ACCUM_OFFSET: 2
; COMPUTE_PGM_RSRC3_GFX90A:TG_SPLIT: 0
	.text
	.protected	_Z10initcdata3P15HIP_vector_typeIdLj2EEmmmmmm ; -- Begin function _Z10initcdata3P15HIP_vector_typeIdLj2EEmmmmmm
	.globl	_Z10initcdata3P15HIP_vector_typeIdLj2EEmmmmmm
	.p2align	8
	.type	_Z10initcdata3P15HIP_vector_typeIdLj2EEmmmmmm,@function
_Z10initcdata3P15HIP_vector_typeIdLj2EEmmmmmm: ; @_Z10initcdata3P15HIP_vector_typeIdLj2EEmmmmmm
; %bb.0:
	s_load_dwordx2 s[0:1], s[4:5], 0x44
	s_load_dwordx8 s[12:19], s[4:5], 0x0
	v_and_b32_e32 v1, 0x3ff, v0
	v_mov_b32_e32 v5, 0
	v_mov_b32_e32 v3, v5
	s_waitcnt lgkmcnt(0)
	s_lshr_b32 s2, s0, 16
	s_and_b32 s0, s0, 0xffff
	s_mul_i32 s6, s6, s0
	s_and_b32 s1, s1, 0xffff
	v_add_u32_e32 v4, s6, v1
	s_mul_i32 s7, s7, s2
	v_bfe_u32 v1, v0, 10, 10
	v_add_u32_e32 v2, s7, v1
	s_mul_i32 s8, s8, s1
	v_bfe_u32 v0, v0, 20, 10
	v_add_u32_e32 v0, s8, v0
	v_mov_b32_e32 v1, v5
	v_cmp_gt_u64_e32 vcc, s[14:15], v[4:5]
	v_cmp_gt_u64_e64 s[0:1], s[16:17], v[2:3]
	s_and_b64 s[0:1], vcc, s[0:1]
	v_cmp_gt_u64_e32 vcc, s[18:19], v[0:1]
	s_and_b64 s[0:1], s[0:1], vcc
	s_and_saveexec_b64 s[2:3], s[0:1]
	s_cbranch_execz .LBB5_2
; %bb.1:
	s_load_dwordx8 s[0:7], s[4:5], 0x20
	v_mov_b32_e32 v3, s13
	s_waitcnt lgkmcnt(0)
	v_mad_u64_u32 v[6:7], s[6:7], v4, s0, 0
	v_mov_b32_e32 v10, v7
	v_mad_u64_u32 v[8:9], s[6:7], v2, s2, 0
	v_mad_u64_u32 v[10:11], s[0:1], v4, s1, v[10:11]
	v_mov_b32_e32 v7, v10
	v_mov_b32_e32 v10, v9
	v_mad_u64_u32 v[10:11], s[0:1], v2, s3, v[10:11]
	v_mov_b32_e32 v9, v10
	v_mad_u64_u32 v[10:11], s[0:1], v0, s4, 0
	v_mov_b32_e32 v12, v11
	v_mad_u64_u32 v[12:13], s[0:1], v0, s5, v[12:13]
	v_cvt_f64_u32_e32 v[4:5], v4
	v_cvt_f64_u32_e32 v[0:1], v0
	v_fmac_f64_e32 v[4:5], 0x40240000, v[0:1]
	v_add_f64 v[0:1], v[4:5], 1.0
	v_lshlrev_b64 v[4:5], 4, v[6:7]
	v_add_co_u32_e32 v6, vcc, s12, v4
	v_addc_co_u32_e32 v3, vcc, v3, v5, vcc
	v_lshlrev_b64 v[4:5], 4, v[8:9]
	v_mov_b32_e32 v11, v12
	v_add_co_u32_e32 v6, vcc, v6, v4
	v_addc_co_u32_e32 v3, vcc, v3, v5, vcc
	v_lshlrev_b64 v[4:5], 4, v[10:11]
	v_add_co_u32_e32 v4, vcc, v6, v4
	v_addc_co_u32_e32 v5, vcc, v3, v5, vcc
	v_add_co_u32_e32 v6, vcc, 10, v2
	v_addc_co_u32_e64 v2, s[0:1], 0, 0, vcc
	v_cvt_f64_u32_e32 v[2:3], v2
	v_ldexp_f64 v[2:3], v[2:3], 32
	v_cvt_f64_u32_e32 v[6:7], v6
	v_add_f64 v[2:3], v[2:3], v[6:7]
	global_store_dwordx4 v[4:5], v[0:3], off
.LBB5_2:
	s_endpgm
	.section	.rodata,"a",@progbits
	.p2align	6, 0x0
	.amdhsa_kernel _Z10initcdata3P15HIP_vector_typeIdLj2EEmmmmmm
		.amdhsa_group_segment_fixed_size 0
		.amdhsa_private_segment_fixed_size 0
		.amdhsa_kernarg_size 312
		.amdhsa_user_sgpr_count 6
		.amdhsa_user_sgpr_private_segment_buffer 1
		.amdhsa_user_sgpr_dispatch_ptr 0
		.amdhsa_user_sgpr_queue_ptr 0
		.amdhsa_user_sgpr_kernarg_segment_ptr 1
		.amdhsa_user_sgpr_dispatch_id 0
		.amdhsa_user_sgpr_flat_scratch_init 0
		.amdhsa_user_sgpr_kernarg_preload_length 0
		.amdhsa_user_sgpr_kernarg_preload_offset 0
		.amdhsa_user_sgpr_private_segment_size 0
		.amdhsa_uses_dynamic_stack 0
		.amdhsa_system_sgpr_private_segment_wavefront_offset 0
		.amdhsa_system_sgpr_workgroup_id_x 1
		.amdhsa_system_sgpr_workgroup_id_y 1
		.amdhsa_system_sgpr_workgroup_id_z 1
		.amdhsa_system_sgpr_workgroup_info 0
		.amdhsa_system_vgpr_workitem_id 2
		.amdhsa_next_free_vgpr 14
		.amdhsa_next_free_sgpr 20
		.amdhsa_accum_offset 16
		.amdhsa_reserve_vcc 1
		.amdhsa_reserve_flat_scratch 0
		.amdhsa_float_round_mode_32 0
		.amdhsa_float_round_mode_16_64 0
		.amdhsa_float_denorm_mode_32 3
		.amdhsa_float_denorm_mode_16_64 3
		.amdhsa_dx10_clamp 1
		.amdhsa_ieee_mode 1
		.amdhsa_fp16_overflow 0
		.amdhsa_tg_split 0
		.amdhsa_exception_fp_ieee_invalid_op 0
		.amdhsa_exception_fp_denorm_src 0
		.amdhsa_exception_fp_ieee_div_zero 0
		.amdhsa_exception_fp_ieee_overflow 0
		.amdhsa_exception_fp_ieee_underflow 0
		.amdhsa_exception_fp_ieee_inexact 0
		.amdhsa_exception_int_div_zero 0
	.end_amdhsa_kernel
	.text
.Lfunc_end5:
	.size	_Z10initcdata3P15HIP_vector_typeIdLj2EEmmmmmm, .Lfunc_end5-_Z10initcdata3P15HIP_vector_typeIdLj2EEmmmmmm
                                        ; -- End function
	.section	.AMDGPU.csdata,"",@progbits
; Kernel info:
; codeLenInByte = 340
; NumSgprs: 24
; NumVgprs: 14
; NumAgprs: 0
; TotalNumVgprs: 14
; ScratchSize: 0
; MemoryBound: 0
; FloatMode: 240
; IeeeMode: 1
; LDSByteSize: 0 bytes/workgroup (compile time only)
; SGPRBlocks: 2
; VGPRBlocks: 1
; NumSGPRsForWavesPerEU: 24
; NumVGPRsForWavesPerEU: 14
; AccumOffset: 16
; Occupancy: 8
; WaveLimiterHint : 0
; COMPUTE_PGM_RSRC2:SCRATCH_EN: 0
; COMPUTE_PGM_RSRC2:USER_SGPR: 6
; COMPUTE_PGM_RSRC2:TRAP_HANDLER: 0
; COMPUTE_PGM_RSRC2:TGID_X_EN: 1
; COMPUTE_PGM_RSRC2:TGID_Y_EN: 1
; COMPUTE_PGM_RSRC2:TGID_Z_EN: 1
; COMPUTE_PGM_RSRC2:TIDIG_COMP_CNT: 2
; COMPUTE_PGM_RSRC3_GFX90A:ACCUM_OFFSET: 3
; COMPUTE_PGM_RSRC3_GFX90A:TG_SPLIT: 0
	.section	.text._ZL47impose_hermitian_symmetry_interleaved_1D_kernelI15HIP_vector_typeIdLj2EEEvPT_mmmmb,"axG",@progbits,_ZL47impose_hermitian_symmetry_interleaved_1D_kernelI15HIP_vector_typeIdLj2EEEvPT_mmmmb,comdat
	.globl	_ZL47impose_hermitian_symmetry_interleaved_1D_kernelI15HIP_vector_typeIdLj2EEEvPT_mmmmb ; -- Begin function _ZL47impose_hermitian_symmetry_interleaved_1D_kernelI15HIP_vector_typeIdLj2EEEvPT_mmmmb
	.p2align	8
	.type	_ZL47impose_hermitian_symmetry_interleaved_1D_kernelI15HIP_vector_typeIdLj2EEEvPT_mmmmb,@function
_ZL47impose_hermitian_symmetry_interleaved_1D_kernelI15HIP_vector_typeIdLj2EEEvPT_mmmmb: ; @_ZL47impose_hermitian_symmetry_interleaved_1D_kernelI15HIP_vector_typeIdLj2EEEvPT_mmmmb
; %bb.0:
	s_load_dword s2, s[4:5], 0x3c
	s_load_dwordx2 s[0:1], s[4:5], 0x20
	s_waitcnt lgkmcnt(0)
	s_and_b32 s2, s2, 0xffff
	s_mul_i32 s6, s6, s2
	v_add_co_u32_e32 v0, vcc, s6, v0
	v_addc_co_u32_e64 v1, s[2:3], 0, 0, vcc
	v_cmp_gt_u64_e32 vcc, s[0:1], v[0:1]
	s_and_saveexec_b64 s[0:1], vcc
	s_cbranch_execz .LBB6_3
; %bb.1:
	s_load_dwordx8 s[8:15], s[4:5], 0x0
	s_load_dword s2, s[4:5], 0x28
	s_waitcnt lgkmcnt(0)
	v_mul_lo_u32 v2, v1, s14
	v_mul_lo_u32 v3, v0, s15
	v_mad_u64_u32 v[0:1], s[0:1], v0, s14, 0
	v_add3_u32 v1, v1, v3, v2
	v_lshlrev_b64 v[0:1], 4, v[0:1]
	v_mov_b32_e32 v2, s9
	v_add_co_u32_e32 v0, vcc, s8, v0
	v_addc_co_u32_e32 v1, vcc, v2, v1, vcc
	v_mov_b32_e32 v2, 0
	v_mov_b32_e32 v3, v2
	s_bitcmp0_b32 s2, 0
	global_store_dwordx2 v[0:1], v[2:3], off offset:8
	s_cbranch_scc1 .LBB6_3
; %bb.2:
	v_mov_b32_e32 v4, s10
	v_alignbit_b32 v4, s11, v4, 1
	v_mul_lo_u32 v5, v4, s13
	v_mul_hi_u32 v6, v4, s12
	s_lshr_b32 s0, s11, 1
	v_add_u32_e32 v5, v6, v5
	s_mul_i32 s0, s0, s12
	v_add_u32_e32 v5, s0, v5
	v_mul_lo_u32 v4, v4, s12
	v_lshlrev_b64 v[4:5], 4, v[4:5]
	v_add_co_u32_e32 v0, vcc, v0, v4
	v_addc_co_u32_e32 v1, vcc, v1, v5, vcc
	global_store_dwordx2 v[0:1], v[2:3], off offset:8
.LBB6_3:
	s_endpgm
	.section	.rodata,"a",@progbits
	.p2align	6, 0x0
	.amdhsa_kernel _ZL47impose_hermitian_symmetry_interleaved_1D_kernelI15HIP_vector_typeIdLj2EEEvPT_mmmmb
		.amdhsa_group_segment_fixed_size 0
		.amdhsa_private_segment_fixed_size 0
		.amdhsa_kernarg_size 304
		.amdhsa_user_sgpr_count 6
		.amdhsa_user_sgpr_private_segment_buffer 1
		.amdhsa_user_sgpr_dispatch_ptr 0
		.amdhsa_user_sgpr_queue_ptr 0
		.amdhsa_user_sgpr_kernarg_segment_ptr 1
		.amdhsa_user_sgpr_dispatch_id 0
		.amdhsa_user_sgpr_flat_scratch_init 0
		.amdhsa_user_sgpr_kernarg_preload_length 0
		.amdhsa_user_sgpr_kernarg_preload_offset 0
		.amdhsa_user_sgpr_private_segment_size 0
		.amdhsa_uses_dynamic_stack 0
		.amdhsa_system_sgpr_private_segment_wavefront_offset 0
		.amdhsa_system_sgpr_workgroup_id_x 1
		.amdhsa_system_sgpr_workgroup_id_y 0
		.amdhsa_system_sgpr_workgroup_id_z 0
		.amdhsa_system_sgpr_workgroup_info 0
		.amdhsa_system_vgpr_workitem_id 0
		.amdhsa_next_free_vgpr 7
		.amdhsa_next_free_sgpr 16
		.amdhsa_accum_offset 8
		.amdhsa_reserve_vcc 1
		.amdhsa_reserve_flat_scratch 0
		.amdhsa_float_round_mode_32 0
		.amdhsa_float_round_mode_16_64 0
		.amdhsa_float_denorm_mode_32 3
		.amdhsa_float_denorm_mode_16_64 3
		.amdhsa_dx10_clamp 1
		.amdhsa_ieee_mode 1
		.amdhsa_fp16_overflow 0
		.amdhsa_tg_split 0
		.amdhsa_exception_fp_ieee_invalid_op 0
		.amdhsa_exception_fp_denorm_src 0
		.amdhsa_exception_fp_ieee_div_zero 0
		.amdhsa_exception_fp_ieee_overflow 0
		.amdhsa_exception_fp_ieee_underflow 0
		.amdhsa_exception_fp_ieee_inexact 0
		.amdhsa_exception_int_div_zero 0
	.end_amdhsa_kernel
	.section	.text._ZL47impose_hermitian_symmetry_interleaved_1D_kernelI15HIP_vector_typeIdLj2EEEvPT_mmmmb,"axG",@progbits,_ZL47impose_hermitian_symmetry_interleaved_1D_kernelI15HIP_vector_typeIdLj2EEEvPT_mmmmb,comdat
.Lfunc_end6:
	.size	_ZL47impose_hermitian_symmetry_interleaved_1D_kernelI15HIP_vector_typeIdLj2EEEvPT_mmmmb, .Lfunc_end6-_ZL47impose_hermitian_symmetry_interleaved_1D_kernelI15HIP_vector_typeIdLj2EEEvPT_mmmmb
                                        ; -- End function
	.section	.AMDGPU.csdata,"",@progbits
; Kernel info:
; codeLenInByte = 232
; NumSgprs: 20
; NumVgprs: 7
; NumAgprs: 0
; TotalNumVgprs: 7
; ScratchSize: 0
; MemoryBound: 0
; FloatMode: 240
; IeeeMode: 1
; LDSByteSize: 0 bytes/workgroup (compile time only)
; SGPRBlocks: 2
; VGPRBlocks: 0
; NumSGPRsForWavesPerEU: 20
; NumVGPRsForWavesPerEU: 7
; AccumOffset: 8
; Occupancy: 8
; WaveLimiterHint : 0
; COMPUTE_PGM_RSRC2:SCRATCH_EN: 0
; COMPUTE_PGM_RSRC2:USER_SGPR: 6
; COMPUTE_PGM_RSRC2:TRAP_HANDLER: 0
; COMPUTE_PGM_RSRC2:TGID_X_EN: 1
; COMPUTE_PGM_RSRC2:TGID_Y_EN: 0
; COMPUTE_PGM_RSRC2:TGID_Z_EN: 0
; COMPUTE_PGM_RSRC2:TIDIG_COMP_CNT: 0
; COMPUTE_PGM_RSRC3_GFX90A:ACCUM_OFFSET: 1
; COMPUTE_PGM_RSRC3_GFX90A:TG_SPLIT: 0
	.section	.text._ZL47impose_hermitian_symmetry_interleaved_2D_kernelI15HIP_vector_typeIdLj2EEEvPT_mmmmmmmbb,"axG",@progbits,_ZL47impose_hermitian_symmetry_interleaved_2D_kernelI15HIP_vector_typeIdLj2EEEvPT_mmmmmmmbb,comdat
	.globl	_ZL47impose_hermitian_symmetry_interleaved_2D_kernelI15HIP_vector_typeIdLj2EEEvPT_mmmmmmmbb ; -- Begin function _ZL47impose_hermitian_symmetry_interleaved_2D_kernelI15HIP_vector_typeIdLj2EEEvPT_mmmmmmmbb
	.p2align	8
	.type	_ZL47impose_hermitian_symmetry_interleaved_2D_kernelI15HIP_vector_typeIdLj2EEEvPT_mmmmmmmbb,@function
_ZL47impose_hermitian_symmetry_interleaved_2D_kernelI15HIP_vector_typeIdLj2EEEvPT_mmmmmmmbb: ; @_ZL47impose_hermitian_symmetry_interleaved_2D_kernelI15HIP_vector_typeIdLj2EEEvPT_mmmmmmmbb
; %bb.0:
	s_load_dword s2, s[4:5], 0x54
	s_load_dwordx16 s[8:23], s[4:5], 0x0
	v_and_b32_e32 v1, 0x3ff, v0
	s_waitcnt lgkmcnt(0)
	s_and_b32 s0, s2, 0xffff
	s_mul_i32 s6, s6, s0
	v_add_co_u32_e32 v4, vcc, s6, v1
	v_addc_co_u32_e64 v5, s[0:1], 0, 0, vcc
	v_cmp_gt_u64_e32 vcc, s[20:21], v[4:5]
	s_and_saveexec_b64 s[0:1], vcc
	s_cbranch_execz .LBB7_9
; %bb.1:
	s_load_dword s6, s[4:5], 0x40
	v_bfe_u32 v0, v0, 10, 10
	v_mul_lo_u32 v5, v5, s18
	v_mul_lo_u32 v6, v4, s19
	s_waitcnt lgkmcnt(0)
	s_bitcmp1_b32 s6, 8
	s_cselect_b64 s[0:1], -1, 0
	s_lshr_b32 s2, s2, 16
	s_mul_i32 s7, s7, s2
	v_add_co_u32_e32 v2, vcc, s7, v0
	v_mad_u64_u32 v[0:1], s[2:3], v4, s18, 0
	v_addc_co_u32_e64 v3, s[2:3], 0, 0, vcc
	v_add3_u32 v1, v1, v6, v5
	v_cmp_eq_u64_e32 vcc, 0, v[2:3]
	v_lshlrev_b64 v[0:1], 4, v[0:1]
	s_and_saveexec_b64 s[2:3], vcc
	s_cbranch_execz .LBB7_6
; %bb.2:
	s_bitcmp1_b32 s6, 0
	v_mov_b32_e32 v5, s9
	v_add_co_u32_e32 v4, vcc, s8, v0
	v_mov_b32_e32 v6, 0
	s_cselect_b64 s[4:5], -1, 0
	v_addc_co_u32_e32 v5, vcc, v5, v1, vcc
	v_mov_b32_e32 v7, v6
	s_bitcmp0_b32 s6, 0
	global_store_dwordx2 v[4:5], v[6:7], off offset:8
	s_cbranch_scc0 .LBB7_10
; %bb.3:
	s_andn2_b64 vcc, exec, s[0:1]
	s_cbranch_vccz .LBB7_11
.LBB7_4:
	s_and_b64 s[4:5], s[4:5], s[0:1]
	s_andn2_b64 vcc, exec, s[4:5]
	s_cbranch_vccnz .LBB7_6
.LBB7_5:
	v_mov_b32_e32 v6, s10
	v_alignbit_b32 v6, s11, v6, 1
	v_mul_lo_u32 v7, v6, s15
	v_mul_hi_u32 v8, v6, s14
	v_add_u32_e32 v7, v8, v7
	s_lshr_b32 s4, s11, 1
	v_mov_b32_e32 v8, s12
	s_mul_i32 s4, s4, s14
	v_alignbit_b32 v8, s13, v8, 1
	v_add_u32_e32 v7, s4, v7
	v_mul_lo_u32 v9, v8, s17
	v_mul_hi_u32 v10, v8, s16
	s_lshr_b32 s4, s13, 1
	v_add_u32_e32 v9, v10, v9
	s_mul_i32 s4, s4, s16
	v_mul_lo_u32 v6, v6, s14
	v_add_u32_e32 v9, s4, v9
	v_mul_lo_u32 v8, v8, s16
	v_lshlrev_b64 v[6:7], 4, v[6:7]
	v_lshlrev_b64 v[8:9], 4, v[8:9]
	v_add_co_u32_e32 v6, vcc, v8, v6
	v_addc_co_u32_e32 v7, vcc, v9, v7, vcc
	v_add_co_u32_e32 v4, vcc, v6, v4
	v_mov_b32_e32 v6, 0
	v_addc_co_u32_e32 v5, vcc, v7, v5, vcc
	v_mov_b32_e32 v7, v6
	global_store_dwordx2 v[4:5], v[6:7], off offset:8
.LBB7_6:
	s_or_b64 exec, exec, s[2:3]
	v_cmp_gt_u64_e32 vcc, s[22:23], v[2:3]
	s_and_b64 exec, exec, vcc
	s_cbranch_execz .LBB7_9
; %bb.7:
	v_add_co_u32_e32 v8, vcc, 1, v2
	v_addc_co_u32_e32 v9, vcc, 0, v3, vcc
	v_mul_lo_u32 v4, v9, s14
	v_mul_lo_u32 v5, v8, s15
	v_mad_u64_u32 v[2:3], s[2:3], v8, s14, 0
	v_add3_u32 v3, v3, v5, v4
	v_lshlrev_b64 v[2:3], 4, v[2:3]
	v_mov_b32_e32 v4, s9
	v_add_co_u32_e32 v2, vcc, s8, v2
	v_addc_co_u32_e32 v3, vcc, v4, v3, vcc
	v_add_co_u32_e32 v2, vcc, v2, v0
	v_addc_co_u32_e32 v3, vcc, v3, v1, vcc
	global_load_dwordx4 v[4:7], v[2:3], off
	v_mov_b32_e32 v10, s11
	v_sub_co_u32_e32 v8, vcc, s10, v8
	v_subb_co_u32_e32 v9, vcc, v10, v9, vcc
	v_mul_lo_u32 v10, v9, s14
	v_mul_lo_u32 v12, v8, s15
	v_mad_u64_u32 v[8:9], s[2:3], v8, s14, 0
	v_add3_u32 v9, v9, v12, v10
	v_lshlrev_b64 v[8:9], 4, v[8:9]
	v_mov_b32_e32 v11, s9
	v_add_co_u32_e32 v8, vcc, s8, v8
	v_addc_co_u32_e32 v9, vcc, v11, v9, vcc
	v_add_co_u32_e32 v0, vcc, v8, v0
	v_addc_co_u32_e32 v1, vcc, v9, v1, vcc
	s_andn2_b64 vcc, exec, s[0:1]
	s_waitcnt vmcnt(0)
	v_xor_b32_e32 v7, 0x80000000, v7
	global_store_dwordx4 v[0:1], v[4:7], off
	s_cbranch_vccnz .LBB7_9
; %bb.8:
	v_mov_b32_e32 v4, s12
	v_alignbit_b32 v4, s13, v4, 1
	v_mul_lo_u32 v5, v4, s17
	v_mul_hi_u32 v6, v4, s16
	s_lshr_b32 s0, s13, 1
	v_add_u32_e32 v5, v6, v5
	s_mul_i32 s0, s0, s16
	v_add_u32_e32 v5, s0, v5
	v_mul_lo_u32 v4, v4, s16
	v_lshlrev_b64 v[6:7], 4, v[4:5]
	v_add_co_u32_e32 v2, vcc, v2, v6
	v_addc_co_u32_e32 v3, vcc, v3, v7, vcc
	global_load_dwordx4 v[2:5], v[2:3], off
	v_add_co_u32_e32 v0, vcc, v0, v6
	v_addc_co_u32_e32 v1, vcc, v1, v7, vcc
	s_waitcnt vmcnt(0)
	v_xor_b32_e32 v5, 0x80000000, v5
	global_store_dwordx4 v[0:1], v[2:5], off
.LBB7_9:
	s_endpgm
.LBB7_10:
	v_mov_b32_e32 v8, s10
	v_alignbit_b32 v8, s11, v8, 1
	v_mul_lo_u32 v9, v8, s15
	v_mul_hi_u32 v10, v8, s14
	s_lshr_b32 s6, s11, 1
	v_add_u32_e32 v9, v10, v9
	s_mul_i32 s6, s6, s14
	v_add_u32_e32 v9, s6, v9
	v_mul_lo_u32 v8, v8, s14
	v_lshlrev_b64 v[8:9], 4, v[8:9]
	v_add_co_u32_e32 v8, vcc, v4, v8
	v_addc_co_u32_e32 v9, vcc, v5, v9, vcc
	global_store_dwordx2 v[8:9], v[6:7], off offset:8
	s_andn2_b64 vcc, exec, s[0:1]
	s_cbranch_vccnz .LBB7_4
.LBB7_11:
	v_mov_b32_e32 v6, s12
	v_alignbit_b32 v6, s13, v6, 1
	v_mul_lo_u32 v7, v6, s17
	v_mul_hi_u32 v8, v6, s16
	s_lshr_b32 s6, s13, 1
	v_add_u32_e32 v7, v8, v7
	s_mul_i32 s6, s6, s16
	v_add_u32_e32 v7, s6, v7
	v_mul_lo_u32 v6, v6, s16
	v_lshlrev_b64 v[6:7], 4, v[6:7]
	v_add_co_u32_e32 v6, vcc, v4, v6
	v_mov_b32_e32 v8, 0
	v_addc_co_u32_e32 v7, vcc, v5, v7, vcc
	v_mov_b32_e32 v9, v8
	global_store_dwordx2 v[6:7], v[8:9], off offset:8
	s_and_b64 s[4:5], s[4:5], s[0:1]
	s_andn2_b64 vcc, exec, s[4:5]
	s_cbranch_vccz .LBB7_5
	s_branch .LBB7_6
	.section	.rodata,"a",@progbits
	.p2align	6, 0x0
	.amdhsa_kernel _ZL47impose_hermitian_symmetry_interleaved_2D_kernelI15HIP_vector_typeIdLj2EEEvPT_mmmmmmmbb
		.amdhsa_group_segment_fixed_size 0
		.amdhsa_private_segment_fixed_size 0
		.amdhsa_kernarg_size 328
		.amdhsa_user_sgpr_count 6
		.amdhsa_user_sgpr_private_segment_buffer 1
		.amdhsa_user_sgpr_dispatch_ptr 0
		.amdhsa_user_sgpr_queue_ptr 0
		.amdhsa_user_sgpr_kernarg_segment_ptr 1
		.amdhsa_user_sgpr_dispatch_id 0
		.amdhsa_user_sgpr_flat_scratch_init 0
		.amdhsa_user_sgpr_kernarg_preload_length 0
		.amdhsa_user_sgpr_kernarg_preload_offset 0
		.amdhsa_user_sgpr_private_segment_size 0
		.amdhsa_uses_dynamic_stack 0
		.amdhsa_system_sgpr_private_segment_wavefront_offset 0
		.amdhsa_system_sgpr_workgroup_id_x 1
		.amdhsa_system_sgpr_workgroup_id_y 1
		.amdhsa_system_sgpr_workgroup_id_z 0
		.amdhsa_system_sgpr_workgroup_info 0
		.amdhsa_system_vgpr_workitem_id 1
		.amdhsa_next_free_vgpr 13
		.amdhsa_next_free_sgpr 24
		.amdhsa_accum_offset 16
		.amdhsa_reserve_vcc 1
		.amdhsa_reserve_flat_scratch 0
		.amdhsa_float_round_mode_32 0
		.amdhsa_float_round_mode_16_64 0
		.amdhsa_float_denorm_mode_32 3
		.amdhsa_float_denorm_mode_16_64 3
		.amdhsa_dx10_clamp 1
		.amdhsa_ieee_mode 1
		.amdhsa_fp16_overflow 0
		.amdhsa_tg_split 0
		.amdhsa_exception_fp_ieee_invalid_op 0
		.amdhsa_exception_fp_denorm_src 0
		.amdhsa_exception_fp_ieee_div_zero 0
		.amdhsa_exception_fp_ieee_overflow 0
		.amdhsa_exception_fp_ieee_underflow 0
		.amdhsa_exception_fp_ieee_inexact 0
		.amdhsa_exception_int_div_zero 0
	.end_amdhsa_kernel
	.section	.text._ZL47impose_hermitian_symmetry_interleaved_2D_kernelI15HIP_vector_typeIdLj2EEEvPT_mmmmmmmbb,"axG",@progbits,_ZL47impose_hermitian_symmetry_interleaved_2D_kernelI15HIP_vector_typeIdLj2EEEvPT_mmmmmmmbb,comdat
.Lfunc_end7:
	.size	_ZL47impose_hermitian_symmetry_interleaved_2D_kernelI15HIP_vector_typeIdLj2EEEvPT_mmmmmmmbb, .Lfunc_end7-_ZL47impose_hermitian_symmetry_interleaved_2D_kernelI15HIP_vector_typeIdLj2EEEvPT_mmmmmmmbb
                                        ; -- End function
	.section	.AMDGPU.csdata,"",@progbits
; Kernel info:
; codeLenInByte = 864
; NumSgprs: 28
; NumVgprs: 13
; NumAgprs: 0
; TotalNumVgprs: 13
; ScratchSize: 0
; MemoryBound: 0
; FloatMode: 240
; IeeeMode: 1
; LDSByteSize: 0 bytes/workgroup (compile time only)
; SGPRBlocks: 3
; VGPRBlocks: 1
; NumSGPRsForWavesPerEU: 28
; NumVGPRsForWavesPerEU: 13
; AccumOffset: 16
; Occupancy: 8
; WaveLimiterHint : 0
; COMPUTE_PGM_RSRC2:SCRATCH_EN: 0
; COMPUTE_PGM_RSRC2:USER_SGPR: 6
; COMPUTE_PGM_RSRC2:TRAP_HANDLER: 0
; COMPUTE_PGM_RSRC2:TGID_X_EN: 1
; COMPUTE_PGM_RSRC2:TGID_Y_EN: 1
; COMPUTE_PGM_RSRC2:TGID_Z_EN: 0
; COMPUTE_PGM_RSRC2:TIDIG_COMP_CNT: 1
; COMPUTE_PGM_RSRC3_GFX90A:ACCUM_OFFSET: 3
; COMPUTE_PGM_RSRC3_GFX90A:TG_SPLIT: 0
	.section	.text._ZL47impose_hermitian_symmetry_interleaved_3D_kernelI15HIP_vector_typeIdLj2EEEvPT_mmmmmmmmmmmbbb,"axG",@progbits,_ZL47impose_hermitian_symmetry_interleaved_3D_kernelI15HIP_vector_typeIdLj2EEEvPT_mmmmmmmmmmmbbb,comdat
	.globl	_ZL47impose_hermitian_symmetry_interleaved_3D_kernelI15HIP_vector_typeIdLj2EEEvPT_mmmmmmmmmmmbbb ; -- Begin function _ZL47impose_hermitian_symmetry_interleaved_3D_kernelI15HIP_vector_typeIdLj2EEEvPT_mmmmmmmmmmmbbb
	.p2align	8
	.type	_ZL47impose_hermitian_symmetry_interleaved_3D_kernelI15HIP_vector_typeIdLj2EEEvPT_mmmmmmmmmmmbbb,@function
_ZL47impose_hermitian_symmetry_interleaved_3D_kernelI15HIP_vector_typeIdLj2EEEvPT_mmmmmmmmmmmbbb: ; @_ZL47impose_hermitian_symmetry_interleaved_3D_kernelI15HIP_vector_typeIdLj2EEEvPT_mmmmmmmmmmmbbb
; %bb.0:
	s_load_dword s0, s[4:5], 0x74
	s_load_dwordx8 s[36:43], s[4:5], 0x40
	v_and_b32_e32 v1, 0x3ff, v0
	s_waitcnt lgkmcnt(0)
	s_and_b32 s1, s0, 0xffff
	s_mul_i32 s6, s6, s1
	v_add_co_u32_e32 v6, vcc, s6, v1
	v_addc_co_u32_e64 v7, s[2:3], 0, 0, vcc
	v_cmp_gt_u64_e32 vcc, s[36:37], v[6:7]
	s_and_saveexec_b64 s[2:3], vcc
	s_cbranch_execz .LBB8_32
; %bb.1:
	s_load_dword s1, s[4:5], 0x78
	s_load_dwordx16 s[12:27], s[4:5], 0x0
	s_lshr_b32 s0, s0, 16
	v_bfe_u32 v1, v0, 10, 10
	s_mul_i32 s7, s7, s0
	v_add_co_u32_e32 v4, vcc, s7, v1
	s_waitcnt lgkmcnt(0)
	s_and_b32 s2, s1, 0xffff
	v_addc_co_u32_e64 v5, s[0:1], 0, 0, vcc
	s_and_b32 s0, s2, 0xffff
	v_bfe_u32 v0, v0, 20, 10
	s_mul_i32 s8, s8, s0
	v_add_co_u32_e32 v2, vcc, s8, v0
	v_addc_co_u32_e64 v3, s[0:1], 0, 0, vcc
	v_mul_lo_u32 v7, v7, s26
	v_mul_lo_u32 v8, v6, s27
	v_mad_u64_u32 v[0:1], s[2:3], v6, s26, 0
	v_cmp_eq_u64_e64 s[0:1], 0, v[4:5]
	v_cmp_eq_u64_e32 vcc, 0, v[2:3]
	v_add3_u32 v1, v1, v8, v7
	s_and_b64 s[30:31], s[0:1], vcc
	v_lshlrev_b64 v[0:1], 4, v[0:1]
	s_and_saveexec_b64 s[6:7], s[30:31]
	s_cbranch_execz .LBB8_3
; %bb.2:
	v_mov_b32_e32 v7, s13
	v_add_co_u32_e64 v6, s[2:3], s12, v0
	v_mov_b32_e32 v8, 0
	v_addc_co_u32_e64 v7, s[2:3], v7, v1, s[2:3]
	v_mov_b32_e32 v9, v8
	global_store_dwordx2 v[6:7], v[8:9], off offset:8
.LBB8_3:
	s_or_b64 exec, exec, s[6:7]
	s_load_dword s6, s[4:5], 0x60
	s_waitcnt lgkmcnt(0)
	s_bitcmp1_b32 s6, 0
	s_cselect_b64 s[26:27], -1, 0
	s_xor_b64 s[8:9], s[26:27], -1
	s_xor_b64 s[28:29], s[30:31], -1
	s_or_b64 s[2:3], s[8:9], s[28:29]
	s_xor_b64 s[2:3], s[2:3], -1
	s_and_saveexec_b64 s[4:5], s[2:3]
	s_cbranch_execz .LBB8_5
; %bb.4:
	v_mov_b32_e32 v6, s14
	v_alignbit_b32 v6, s15, v6, 1
	v_mul_lo_u32 v7, v6, s21
	v_mul_hi_u32 v8, v6, s20
	s_lshr_b32 s2, s15, 1
	v_add_u32_e32 v7, v8, v7
	s_mul_i32 s2, s2, s20
	v_add_u32_e32 v7, s2, v7
	v_mul_lo_u32 v6, v6, s20
	v_lshlrev_b64 v[6:7], 4, v[6:7]
	v_mov_b32_e32 v8, s13
	v_add_co_u32_e64 v6, s[2:3], s12, v6
	v_addc_co_u32_e64 v7, s[2:3], v7, v8, s[2:3]
	v_add_co_u32_e64 v6, s[2:3], v6, v0
	v_mov_b32_e32 v8, 0
	v_addc_co_u32_e64 v7, s[2:3], v7, v1, s[2:3]
	v_mov_b32_e32 v9, v8
	global_store_dwordx2 v[6:7], v[8:9], off offset:8
.LBB8_5:
	s_or_b64 exec, exec, s[4:5]
	s_bitcmp1_b32 s6, 8
	s_cselect_b64 s[10:11], -1, 0
	s_xor_b64 s[34:35], s[10:11], -1
	s_or_b64 s[2:3], s[34:35], s[28:29]
	s_xor_b64 s[2:3], s[2:3], -1
	s_and_saveexec_b64 s[4:5], s[2:3]
	s_cbranch_execz .LBB8_7
; %bb.6:
	v_mov_b32_e32 v6, s16
	v_alignbit_b32 v6, s17, v6, 1
	v_mul_lo_u32 v7, v6, s23
	v_mul_hi_u32 v8, v6, s22
	s_lshr_b32 s2, s17, 1
	v_add_u32_e32 v7, v8, v7
	s_mul_i32 s2, s2, s22
	v_add_u32_e32 v7, s2, v7
	v_mul_lo_u32 v6, v6, s22
	v_lshlrev_b64 v[6:7], 4, v[6:7]
	v_mov_b32_e32 v8, s13
	v_add_co_u32_e64 v6, s[2:3], s12, v6
	v_addc_co_u32_e64 v7, s[2:3], v7, v8, s[2:3]
	v_add_co_u32_e64 v6, s[2:3], v6, v0
	v_mov_b32_e32 v8, 0
	v_addc_co_u32_e64 v7, s[2:3], v7, v1, s[2:3]
	v_mov_b32_e32 v9, v8
	global_store_dwordx2 v[6:7], v[8:9], off offset:8
.LBB8_7:
	s_or_b64 exec, exec, s[4:5]
	s_bitcmp1_b32 s6, 16
	s_cselect_b64 s[6:7], -1, 0
	s_and_b64 s[4:5], s[30:31], s[6:7]
	s_and_saveexec_b64 s[30:31], s[4:5]
	s_cbranch_execz .LBB8_9
; %bb.8:
	v_mov_b32_e32 v6, s18
	v_alignbit_b32 v6, s19, v6, 1
	v_mul_lo_u32 v7, v6, s25
	v_mul_hi_u32 v8, v6, s24
	s_lshr_b32 s2, s19, 1
	v_add_u32_e32 v7, v8, v7
	s_mul_i32 s2, s2, s24
	v_add_u32_e32 v7, s2, v7
	v_mul_lo_u32 v6, v6, s24
	v_lshlrev_b64 v[6:7], 4, v[6:7]
	v_mov_b32_e32 v8, s13
	v_add_co_u32_e64 v6, s[2:3], s12, v6
	v_addc_co_u32_e64 v7, s[2:3], v7, v8, s[2:3]
	v_add_co_u32_e64 v6, s[2:3], v6, v0
	v_mov_b32_e32 v8, 0
	v_addc_co_u32_e64 v7, s[2:3], v7, v1, s[2:3]
	v_mov_b32_e32 v9, v8
	global_store_dwordx2 v[6:7], v[8:9], off offset:8
.LBB8_9:
	s_or_b64 exec, exec, s[30:31]
	s_or_b64 s[8:9], s[8:9], s[34:35]
	s_or_b64 s[2:3], s[8:9], s[28:29]
	s_xor_b64 s[2:3], s[2:3], -1
	s_and_saveexec_b64 s[28:29], s[2:3]
	s_cbranch_execnz .LBB8_33
; %bb.10:
	s_or_b64 exec, exec, s[28:29]
	s_and_b64 s[2:3], s[4:5], s[26:27]
	s_and_saveexec_b64 s[28:29], s[2:3]
	s_cbranch_execnz .LBB8_34
.LBB8_11:
	s_or_b64 exec, exec, s[28:29]
	s_and_b64 s[2:3], s[4:5], s[10:11]
	s_and_saveexec_b64 s[28:29], s[2:3]
	s_cbranch_execz .LBB8_13
.LBB8_12:
	v_mov_b32_e32 v6, s16
	v_alignbit_b32 v6, s17, v6, 1
	v_mul_lo_u32 v7, v6, s23
	v_mul_hi_u32 v8, v6, s22
	v_add_u32_e32 v7, v8, v7
	s_lshr_b32 s2, s17, 1
	v_mov_b32_e32 v8, s18
	s_mul_i32 s2, s2, s22
	v_alignbit_b32 v8, s19, v8, 1
	v_add_u32_e32 v7, s2, v7
	v_mul_lo_u32 v9, v8, s25
	v_mul_hi_u32 v10, v8, s24
	s_lshr_b32 s2, s19, 1
	v_add_u32_e32 v9, v10, v9
	s_mul_i32 s2, s2, s24
	v_mul_lo_u32 v6, v6, s22
	v_add_u32_e32 v9, s2, v9
	v_mul_lo_u32 v8, v8, s24
	v_lshlrev_b64 v[6:7], 4, v[6:7]
	v_lshlrev_b64 v[8:9], 4, v[8:9]
	v_add_co_u32_e64 v6, s[2:3], v8, v6
	v_addc_co_u32_e64 v7, s[2:3], v9, v7, s[2:3]
	v_mov_b32_e32 v8, s13
	v_add_co_u32_e64 v6, s[2:3], s12, v6
	v_addc_co_u32_e64 v7, s[2:3], v7, v8, s[2:3]
	v_add_co_u32_e64 v6, s[2:3], v6, v0
	v_mov_b32_e32 v8, 0
	v_addc_co_u32_e64 v7, s[2:3], v7, v1, s[2:3]
	v_mov_b32_e32 v9, v8
	global_store_dwordx2 v[6:7], v[8:9], off offset:8
.LBB8_13:
	s_or_b64 exec, exec, s[28:29]
	s_xor_b64 s[2:3], s[4:5], -1
	s_or_b64 s[2:3], s[8:9], s[2:3]
	s_xor_b64 s[2:3], s[2:3], -1
	s_and_saveexec_b64 s[4:5], s[2:3]
	s_cbranch_execz .LBB8_15
; %bb.14:
	v_mov_b32_e32 v6, s14
	v_alignbit_b32 v6, s15, v6, 1
	v_mul_lo_u32 v7, v6, s21
	v_mul_hi_u32 v8, v6, s20
	v_add_u32_e32 v7, v8, v7
	v_mov_b32_e32 v8, s16
	s_lshr_b32 s2, s15, 1
	v_alignbit_b32 v8, s17, v8, 1
	s_mul_i32 s2, s2, s20
	v_mul_lo_u32 v9, v8, s23
	v_mul_hi_u32 v10, v8, s22
	v_add_u32_e32 v7, s2, v7
	v_add_u32_e32 v9, v10, v9
	s_lshr_b32 s2, s17, 1
	v_mov_b32_e32 v10, s18
	s_mul_i32 s2, s2, s22
	v_alignbit_b32 v10, s19, v10, 1
	v_add_u32_e32 v9, s2, v9
	v_mul_lo_u32 v11, v10, s25
	v_mul_hi_u32 v12, v10, s24
	s_lshr_b32 s2, s19, 1
	v_add_u32_e32 v11, v12, v11
	s_mul_i32 s2, s2, s24
	v_mul_lo_u32 v8, v8, s22
	v_add_u32_e32 v11, s2, v11
	v_mul_lo_u32 v10, v10, s24
	v_lshlrev_b64 v[8:9], 4, v[8:9]
	v_lshlrev_b64 v[10:11], 4, v[10:11]
	v_mul_lo_u32 v6, v6, s20
	v_add_co_u32_e64 v8, s[2:3], v10, v8
	v_lshlrev_b64 v[6:7], 4, v[6:7]
	v_addc_co_u32_e64 v9, s[2:3], v11, v9, s[2:3]
	v_add_co_u32_e64 v6, s[2:3], v8, v6
	v_addc_co_u32_e64 v7, s[2:3], v9, v7, s[2:3]
	v_mov_b32_e32 v8, s13
	v_add_co_u32_e64 v6, s[2:3], s12, v6
	v_addc_co_u32_e64 v7, s[2:3], v7, v8, s[2:3]
	v_add_co_u32_e64 v6, s[2:3], v6, v0
	v_mov_b32_e32 v8, 0
	v_addc_co_u32_e64 v7, s[2:3], v7, v1, s[2:3]
	v_mov_b32_e32 v9, v8
	global_store_dwordx2 v[6:7], v[8:9], off offset:8
.LBB8_15:
	s_or_b64 exec, exec, s[4:5]
	v_cmp_gt_u64_e64 s[2:3], s[42:43], v[2:3]
	s_and_b64 s[8:9], s[0:1], s[2:3]
	s_and_saveexec_b64 s[28:29], s[8:9]
	s_cbranch_execz .LBB8_17
; %bb.16:
	v_add_co_u32_e64 v10, s[4:5], 1, v2
	v_addc_co_u32_e64 v11, s[4:5], 0, v3, s[4:5]
	v_mul_lo_u32 v8, v11, s22
	v_mul_lo_u32 v9, v10, s23
	v_mad_u64_u32 v[6:7], s[4:5], v10, s22, 0
	v_add3_u32 v7, v7, v9, v8
	v_mov_b32_e32 v8, s13
	v_add_co_u32_e64 v12, s[4:5], s12, v0
	v_addc_co_u32_e64 v13, s[4:5], v8, v1, s[4:5]
	v_lshlrev_b64 v[6:7], 4, v[6:7]
	v_add_co_u32_e64 v6, s[4:5], v12, v6
	v_addc_co_u32_e64 v7, s[4:5], v13, v7, s[4:5]
	global_load_dwordx4 v[6:9], v[6:7], off
	v_mov_b32_e32 v14, s17
	v_sub_co_u32_e64 v10, s[4:5], s16, v10
	v_subb_co_u32_e64 v11, s[4:5], v14, v11, s[4:5]
	v_mul_lo_u32 v14, v11, s22
	v_mul_lo_u32 v15, v10, s23
	v_mad_u64_u32 v[10:11], s[4:5], v10, s22, 0
	v_add3_u32 v11, v11, v15, v14
	v_lshlrev_b64 v[10:11], 4, v[10:11]
	v_add_co_u32_e64 v10, s[4:5], v12, v10
	v_addc_co_u32_e64 v11, s[4:5], v13, v11, s[4:5]
	s_waitcnt vmcnt(0)
	v_xor_b32_e32 v9, 0x80000000, v9
	global_store_dwordx4 v[10:11], v[6:9], off
.LBB8_17:
	s_or_b64 exec, exec, s[28:29]
	s_and_b64 s[0:1], s[0:1], s[26:27]
	s_and_b64 s[2:3], s[0:1], s[2:3]
	s_and_saveexec_b64 s[4:5], s[2:3]
	s_cbranch_execz .LBB8_19
; %bb.18:
	v_mov_b32_e32 v6, s14
	v_alignbit_b32 v6, s15, v6, 1
	v_mul_lo_u32 v7, v6, s21
	v_mul_hi_u32 v8, v6, s20
	s_lshr_b32 s0, s15, 1
	v_add_u32_e32 v7, v8, v7
	s_mul_i32 s0, s0, s20
	v_add_u32_e32 v7, s0, v7
	v_add_co_u32_e64 v10, s[0:1], 1, v2
	v_mul_lo_u32 v6, v6, s20
	v_addc_co_u32_e64 v11, s[0:1], 0, v3, s[0:1]
	v_mul_lo_u32 v12, v11, s22
	v_mul_lo_u32 v13, v10, s23
	v_mad_u64_u32 v[8:9], s[0:1], v10, s22, 0
	v_lshlrev_b64 v[6:7], 4, v[6:7]
	v_add3_u32 v9, v9, v13, v12
	v_mov_b32_e32 v12, s13
	v_add_co_u32_e64 v6, s[0:1], s12, v6
	v_addc_co_u32_e64 v7, s[0:1], v7, v12, s[0:1]
	v_add_co_u32_e64 v12, s[0:1], v6, v0
	v_addc_co_u32_e64 v13, s[0:1], v7, v1, s[0:1]
	v_lshlrev_b64 v[6:7], 4, v[8:9]
	v_add_co_u32_e64 v6, s[0:1], v12, v6
	v_addc_co_u32_e64 v7, s[0:1], v13, v7, s[0:1]
	global_load_dwordx4 v[6:9], v[6:7], off
	v_mov_b32_e32 v14, s17
	v_sub_co_u32_e64 v10, s[0:1], s16, v10
	v_subb_co_u32_e64 v11, s[0:1], v14, v11, s[0:1]
	v_mul_lo_u32 v14, v11, s22
	v_mul_lo_u32 v15, v10, s23
	v_mad_u64_u32 v[10:11], s[0:1], v10, s22, 0
	v_add3_u32 v11, v11, v15, v14
	v_lshlrev_b64 v[10:11], 4, v[10:11]
	v_add_co_u32_e64 v10, s[0:1], v12, v10
	v_addc_co_u32_e64 v11, s[0:1], v13, v11, s[0:1]
	s_waitcnt vmcnt(0)
	v_xor_b32_e32 v9, 0x80000000, v9
	global_store_dwordx4 v[10:11], v[6:9], off
.LBB8_19:
	s_or_b64 exec, exec, s[4:5]
	v_cmp_gt_u64_e64 s[0:1], s[38:39], v[4:5]
	s_and_b64 s[26:27], s[0:1], vcc
	s_and_saveexec_b64 s[4:5], s[26:27]
	s_cbranch_execz .LBB8_21
; %bb.20:
	v_add_co_u32_e32 v10, vcc, 1, v4
	v_addc_co_u32_e32 v11, vcc, 0, v5, vcc
	v_mul_lo_u32 v8, v11, s20
	v_mul_lo_u32 v9, v10, s21
	v_mad_u64_u32 v[6:7], s[28:29], v10, s20, 0
	v_add3_u32 v7, v7, v9, v8
	v_mov_b32_e32 v8, s13
	v_add_co_u32_e32 v12, vcc, s12, v0
	v_addc_co_u32_e32 v13, vcc, v8, v1, vcc
	v_lshlrev_b64 v[6:7], 4, v[6:7]
	v_add_co_u32_e32 v6, vcc, v12, v6
	v_addc_co_u32_e32 v7, vcc, v13, v7, vcc
	global_load_dwordx4 v[6:9], v[6:7], off
	v_mov_b32_e32 v14, s15
	v_sub_co_u32_e32 v10, vcc, s14, v10
	v_subb_co_u32_e32 v11, vcc, v14, v11, vcc
	v_mul_lo_u32 v14, v11, s20
	v_mul_lo_u32 v15, v10, s21
	v_mad_u64_u32 v[10:11], s[28:29], v10, s20, 0
	v_add3_u32 v11, v11, v15, v14
	v_lshlrev_b64 v[10:11], 4, v[10:11]
	v_add_co_u32_e32 v10, vcc, v12, v10
	v_addc_co_u32_e32 v11, vcc, v13, v11, vcc
	s_waitcnt vmcnt(0)
	v_xor_b32_e32 v9, 0x80000000, v9
	global_store_dwordx4 v[10:11], v[6:9], off
.LBB8_21:
	s_or_b64 exec, exec, s[4:5]
	s_and_b64 s[4:5], s[26:27], s[10:11]
	s_and_saveexec_b64 s[10:11], s[4:5]
	s_cbranch_execz .LBB8_23
; %bb.22:
	v_mov_b32_e32 v6, s16
	v_alignbit_b32 v6, s17, v6, 1
	v_add_co_u32_e32 v12, vcc, 1, v4
	v_mul_lo_u32 v7, v6, s23
	v_mul_hi_u32 v8, v6, s22
	s_lshr_b32 s28, s17, 1
	v_addc_co_u32_e32 v13, vcc, 0, v5, vcc
	v_add_u32_e32 v7, v8, v7
	s_mul_i32 s28, s28, s22
	v_add_u32_e32 v7, s28, v7
	v_mul_lo_u32 v10, v13, s20
	v_mul_lo_u32 v11, v12, s21
	v_mad_u64_u32 v[8:9], s[28:29], v12, s20, 0
	v_add3_u32 v9, v9, v11, v10
	v_mov_b32_e32 v10, s13
	v_add_co_u32_e32 v14, vcc, s12, v0
	v_addc_co_u32_e32 v15, vcc, v10, v1, vcc
	v_lshlrev_b64 v[8:9], 4, v[8:9]
	v_mul_lo_u32 v6, v6, s22
	v_add_co_u32_e32 v8, vcc, v14, v8
	v_addc_co_u32_e32 v9, vcc, v15, v9, vcc
	v_lshlrev_b64 v[10:11], 4, v[6:7]
	v_add_co_u32_e32 v6, vcc, v8, v10
	v_addc_co_u32_e32 v7, vcc, v9, v11, vcc
	global_load_dwordx4 v[6:9], v[6:7], off
	v_mov_b32_e32 v16, s15
	v_sub_co_u32_e32 v12, vcc, s14, v12
	v_subb_co_u32_e32 v13, vcc, v16, v13, vcc
	v_mul_lo_u32 v16, v13, s20
	v_mul_lo_u32 v17, v12, s21
	v_mad_u64_u32 v[12:13], s[28:29], v12, s20, 0
	v_add3_u32 v13, v13, v17, v16
	v_lshlrev_b64 v[12:13], 4, v[12:13]
	v_add_co_u32_e32 v12, vcc, v14, v12
	v_addc_co_u32_e32 v13, vcc, v15, v13, vcc
	v_add_co_u32_e32 v10, vcc, v12, v10
	v_addc_co_u32_e32 v11, vcc, v13, v11, vcc
	s_waitcnt vmcnt(0)
	v_xor_b32_e32 v9, 0x80000000, v9
	global_store_dwordx4 v[10:11], v[6:9], off
.LBB8_23:
	s_or_b64 exec, exec, s[10:11]
	v_cmp_gt_u64_e32 vcc, s[40:41], v[2:3]
	s_and_b64 s[0:1], s[0:1], vcc
	s_and_saveexec_b64 s[10:11], s[0:1]
	s_cbranch_execz .LBB8_25
; %bb.24:
	v_add_co_u32_e32 v10, vcc, 1, v4
	v_addc_co_u32_e32 v11, vcc, 0, v5, vcc
	v_add_co_u32_e32 v12, vcc, 1, v2
	v_addc_co_u32_e32 v13, vcc, 0, v3, vcc
	v_mul_lo_u32 v8, v11, s20
	v_mul_lo_u32 v9, v10, s21
	v_mad_u64_u32 v[6:7], s[28:29], v10, s20, 0
	v_add3_u32 v7, v7, v9, v8
	v_mul_lo_u32 v14, v13, s22
	v_mul_lo_u32 v15, v12, s23
	v_mad_u64_u32 v[8:9], s[28:29], v12, s22, 0
	v_add3_u32 v9, v9, v15, v14
	v_mov_b32_e32 v14, s13
	v_add_co_u32_e32 v15, vcc, s12, v0
	v_addc_co_u32_e32 v14, vcc, v14, v1, vcc
	v_lshlrev_b64 v[6:7], 4, v[6:7]
	v_add_co_u32_e32 v16, vcc, v15, v6
	v_addc_co_u32_e32 v17, vcc, v14, v7, vcc
	v_lshlrev_b64 v[6:7], 4, v[8:9]
	v_add_co_u32_e32 v6, vcc, v16, v6
	v_addc_co_u32_e32 v7, vcc, v17, v7, vcc
	global_load_dwordx4 v[6:9], v[6:7], off
	v_mov_b32_e32 v16, s15
	v_sub_co_u32_e32 v10, vcc, s14, v10
	v_subb_co_u32_e32 v11, vcc, v16, v11, vcc
	v_mul_lo_u32 v16, v11, s20
	v_mul_lo_u32 v17, v10, s21
	v_mad_u64_u32 v[10:11], s[28:29], v10, s20, 0
	v_add3_u32 v11, v11, v17, v16
	v_mov_b32_e32 v16, s17
	v_sub_co_u32_e32 v12, vcc, s16, v12
	v_subb_co_u32_e32 v13, vcc, v16, v13, vcc
	v_mul_lo_u32 v16, v13, s22
	v_mul_lo_u32 v17, v12, s23
	v_mad_u64_u32 v[12:13], s[28:29], v12, s22, 0
	v_lshlrev_b64 v[10:11], 4, v[10:11]
	v_add3_u32 v13, v13, v17, v16
	v_add_co_u32_e32 v15, vcc, v15, v10
	v_addc_co_u32_e32 v14, vcc, v14, v11, vcc
	v_lshlrev_b64 v[10:11], 4, v[12:13]
	v_add_co_u32_e32 v10, vcc, v15, v10
	v_addc_co_u32_e32 v11, vcc, v14, v11, vcc
	s_waitcnt vmcnt(0)
	v_xor_b32_e32 v9, 0x80000000, v9
	global_store_dwordx4 v[10:11], v[6:9], off
.LBB8_25:
	s_or_b64 exec, exec, s[10:11]
	s_andn2_b64 vcc, exec, s[6:7]
	s_cbranch_vccnz .LBB8_32
; %bb.26:
	s_and_saveexec_b64 s[6:7], s[26:27]
	s_cbranch_execnz .LBB8_35
; %bb.27:
	s_or_b64 exec, exec, s[6:7]
	s_and_saveexec_b64 s[6:7], s[4:5]
	s_cbranch_execnz .LBB8_36
.LBB8_28:
	s_or_b64 exec, exec, s[6:7]
	s_and_saveexec_b64 s[4:5], s[8:9]
	s_cbranch_execnz .LBB8_37
.LBB8_29:
	s_or_b64 exec, exec, s[4:5]
	s_and_saveexec_b64 s[4:5], s[2:3]
	s_cbranch_execnz .LBB8_38
.LBB8_30:
	s_or_b64 exec, exec, s[4:5]
	s_and_b64 exec, exec, s[0:1]
	s_cbranch_execz .LBB8_32
.LBB8_31:
	v_add_co_u32_e32 v8, vcc, 1, v4
	v_addc_co_u32_e32 v9, vcc, 0, v5, vcc
	v_add_co_u32_e32 v10, vcc, 1, v2
	v_mov_b32_e32 v2, s18
	v_alignbit_b32 v2, s19, v2, 1
	v_addc_co_u32_e32 v11, vcc, 0, v3, vcc
	v_mul_lo_u32 v3, v2, s25
	v_mul_hi_u32 v4, v2, s24
	s_lshr_b32 s0, s19, 1
	v_add_u32_e32 v3, v4, v3
	s_mul_i32 s0, s0, s24
	v_add_u32_e32 v3, s0, v3
	v_mul_lo_u32 v6, v9, s20
	v_mul_lo_u32 v7, v8, s21
	v_mad_u64_u32 v[4:5], s[0:1], v8, s20, 0
	v_add3_u32 v5, v5, v7, v6
	v_mul_lo_u32 v12, v11, s22
	v_mul_lo_u32 v13, v10, s23
	v_mad_u64_u32 v[6:7], s[0:1], v10, s22, 0
	v_add3_u32 v7, v7, v13, v12
	v_mov_b32_e32 v12, s13
	v_add_co_u32_e32 v13, vcc, s12, v0
	v_addc_co_u32_e32 v12, vcc, v12, v1, vcc
	v_lshlrev_b64 v[0:1], 4, v[4:5]
	v_add_co_u32_e32 v4, vcc, v13, v0
	v_addc_co_u32_e32 v5, vcc, v12, v1, vcc
	v_lshlrev_b64 v[0:1], 4, v[6:7]
	v_mul_lo_u32 v2, v2, s24
	v_add_co_u32_e32 v0, vcc, v4, v0
	v_addc_co_u32_e32 v1, vcc, v5, v1, vcc
	v_lshlrev_b64 v[4:5], 4, v[2:3]
	v_add_co_u32_e32 v0, vcc, v0, v4
	v_addc_co_u32_e32 v1, vcc, v1, v5, vcc
	global_load_dwordx4 v[0:3], v[0:1], off
	v_mov_b32_e32 v6, s15
	v_sub_co_u32_e32 v7, vcc, s14, v8
	v_subb_co_u32_e32 v6, vcc, v6, v9, vcc
	v_mul_lo_u32 v8, v6, s20
	v_mul_lo_u32 v9, v7, s21
	v_mad_u64_u32 v[6:7], s[0:1], v7, s20, 0
	v_add3_u32 v7, v7, v9, v8
	v_mov_b32_e32 v8, s17
	v_sub_co_u32_e32 v9, vcc, s16, v10
	v_subb_co_u32_e32 v8, vcc, v8, v11, vcc
	v_mul_lo_u32 v10, v8, s22
	v_mul_lo_u32 v11, v9, s23
	v_mad_u64_u32 v[8:9], s[0:1], v9, s22, 0
	v_lshlrev_b64 v[6:7], 4, v[6:7]
	v_add3_u32 v9, v9, v11, v10
	v_add_co_u32_e32 v10, vcc, v13, v6
	v_addc_co_u32_e32 v11, vcc, v12, v7, vcc
	v_lshlrev_b64 v[6:7], 4, v[8:9]
	v_add_co_u32_e32 v6, vcc, v10, v6
	v_addc_co_u32_e32 v7, vcc, v11, v7, vcc
	v_add_co_u32_e32 v4, vcc, v6, v4
	v_addc_co_u32_e32 v5, vcc, v7, v5, vcc
	s_waitcnt vmcnt(0)
	v_xor_b32_e32 v3, 0x80000000, v3
	global_store_dwordx4 v[4:5], v[0:3], off
.LBB8_32:
	s_endpgm
.LBB8_33:
	v_mov_b32_e32 v6, s14
	v_alignbit_b32 v6, s15, v6, 1
	v_mul_lo_u32 v7, v6, s21
	v_mul_hi_u32 v8, v6, s20
	v_add_u32_e32 v7, v8, v7
	s_lshr_b32 s2, s15, 1
	v_mov_b32_e32 v8, s16
	s_mul_i32 s2, s2, s20
	v_alignbit_b32 v8, s17, v8, 1
	v_add_u32_e32 v7, s2, v7
	v_mul_lo_u32 v9, v8, s23
	v_mul_hi_u32 v10, v8, s22
	s_lshr_b32 s2, s17, 1
	v_add_u32_e32 v9, v10, v9
	s_mul_i32 s2, s2, s22
	v_mul_lo_u32 v6, v6, s20
	v_add_u32_e32 v9, s2, v9
	v_mul_lo_u32 v8, v8, s22
	v_lshlrev_b64 v[6:7], 4, v[6:7]
	v_lshlrev_b64 v[8:9], 4, v[8:9]
	v_add_co_u32_e64 v6, s[2:3], v8, v6
	v_addc_co_u32_e64 v7, s[2:3], v9, v7, s[2:3]
	v_mov_b32_e32 v8, s13
	v_add_co_u32_e64 v6, s[2:3], s12, v6
	v_addc_co_u32_e64 v7, s[2:3], v7, v8, s[2:3]
	v_add_co_u32_e64 v6, s[2:3], v6, v0
	v_mov_b32_e32 v8, 0
	v_addc_co_u32_e64 v7, s[2:3], v7, v1, s[2:3]
	v_mov_b32_e32 v9, v8
	global_store_dwordx2 v[6:7], v[8:9], off offset:8
	s_or_b64 exec, exec, s[28:29]
	s_and_b64 s[2:3], s[4:5], s[26:27]
	s_and_saveexec_b64 s[28:29], s[2:3]
	s_cbranch_execz .LBB8_11
.LBB8_34:
	v_mov_b32_e32 v6, s14
	v_alignbit_b32 v6, s15, v6, 1
	v_mul_lo_u32 v7, v6, s21
	v_mul_hi_u32 v8, v6, s20
	v_add_u32_e32 v7, v8, v7
	s_lshr_b32 s2, s15, 1
	v_mov_b32_e32 v8, s18
	s_mul_i32 s2, s2, s20
	v_alignbit_b32 v8, s19, v8, 1
	v_add_u32_e32 v7, s2, v7
	v_mul_lo_u32 v9, v8, s25
	v_mul_hi_u32 v10, v8, s24
	s_lshr_b32 s2, s19, 1
	v_add_u32_e32 v9, v10, v9
	s_mul_i32 s2, s2, s24
	v_mul_lo_u32 v6, v6, s20
	v_add_u32_e32 v9, s2, v9
	v_mul_lo_u32 v8, v8, s24
	v_lshlrev_b64 v[6:7], 4, v[6:7]
	v_lshlrev_b64 v[8:9], 4, v[8:9]
	v_add_co_u32_e64 v6, s[2:3], v8, v6
	v_addc_co_u32_e64 v7, s[2:3], v9, v7, s[2:3]
	v_mov_b32_e32 v8, s13
	v_add_co_u32_e64 v6, s[2:3], s12, v6
	v_addc_co_u32_e64 v7, s[2:3], v7, v8, s[2:3]
	v_add_co_u32_e64 v6, s[2:3], v6, v0
	v_mov_b32_e32 v8, 0
	v_addc_co_u32_e64 v7, s[2:3], v7, v1, s[2:3]
	v_mov_b32_e32 v9, v8
	global_store_dwordx2 v[6:7], v[8:9], off offset:8
	s_or_b64 exec, exec, s[28:29]
	s_and_b64 s[2:3], s[4:5], s[10:11]
	s_and_saveexec_b64 s[28:29], s[2:3]
	s_cbranch_execnz .LBB8_12
	s_branch .LBB8_13
.LBB8_35:
	v_mov_b32_e32 v6, s18
	v_alignbit_b32 v6, s19, v6, 1
	v_add_co_u32_e32 v12, vcc, 1, v4
	v_mul_lo_u32 v7, v6, s25
	v_mul_hi_u32 v8, v6, s24
	s_lshr_b32 s10, s19, 1
	v_addc_co_u32_e32 v13, vcc, 0, v5, vcc
	v_add_u32_e32 v7, v8, v7
	s_mul_i32 s10, s10, s24
	v_add_u32_e32 v7, s10, v7
	v_mul_lo_u32 v10, v13, s20
	v_mul_lo_u32 v11, v12, s21
	v_mad_u64_u32 v[8:9], s[10:11], v12, s20, 0
	v_add3_u32 v9, v9, v11, v10
	v_mov_b32_e32 v10, s13
	v_add_co_u32_e32 v14, vcc, s12, v0
	v_addc_co_u32_e32 v15, vcc, v10, v1, vcc
	v_lshlrev_b64 v[8:9], 4, v[8:9]
	v_mul_lo_u32 v6, v6, s24
	v_add_co_u32_e32 v8, vcc, v14, v8
	v_addc_co_u32_e32 v9, vcc, v15, v9, vcc
	v_lshlrev_b64 v[10:11], 4, v[6:7]
	v_add_co_u32_e32 v6, vcc, v8, v10
	v_addc_co_u32_e32 v7, vcc, v9, v11, vcc
	global_load_dwordx4 v[6:9], v[6:7], off
	v_mov_b32_e32 v16, s15
	v_sub_co_u32_e32 v12, vcc, s14, v12
	v_subb_co_u32_e32 v13, vcc, v16, v13, vcc
	v_mul_lo_u32 v16, v13, s20
	v_mul_lo_u32 v17, v12, s21
	v_mad_u64_u32 v[12:13], s[10:11], v12, s20, 0
	v_add3_u32 v13, v13, v17, v16
	v_lshlrev_b64 v[12:13], 4, v[12:13]
	v_add_co_u32_e32 v12, vcc, v14, v12
	v_addc_co_u32_e32 v13, vcc, v15, v13, vcc
	v_add_co_u32_e32 v10, vcc, v12, v10
	v_addc_co_u32_e32 v11, vcc, v13, v11, vcc
	s_waitcnt vmcnt(0)
	v_xor_b32_e32 v9, 0x80000000, v9
	global_store_dwordx4 v[10:11], v[6:9], off
	s_or_b64 exec, exec, s[6:7]
	s_and_saveexec_b64 s[6:7], s[4:5]
	s_cbranch_execz .LBB8_28
.LBB8_36:
	v_mov_b32_e32 v6, s18
	v_alignbit_b32 v6, s19, v6, 1
	v_add_co_u32_e32 v12, vcc, 1, v4
	v_mul_lo_u32 v7, v6, s25
	v_mul_hi_u32 v8, v6, s24
	s_lshr_b32 s4, s19, 1
	v_addc_co_u32_e32 v13, vcc, 0, v5, vcc
	v_add_u32_e32 v7, v8, v7
	s_mul_i32 s4, s4, s24
	v_add_u32_e32 v7, s4, v7
	v_mul_lo_u32 v10, v13, s20
	v_mul_lo_u32 v11, v12, s21
	v_mad_u64_u32 v[8:9], s[4:5], v12, s20, 0
	v_add3_u32 v9, v9, v11, v10
	v_mov_b32_e32 v10, s13
	v_add_co_u32_e32 v14, vcc, s12, v0
	v_addc_co_u32_e32 v15, vcc, v10, v1, vcc
	v_lshlrev_b64 v[8:9], 4, v[8:9]
	v_mul_lo_u32 v6, v6, s24
	v_add_co_u32_e32 v8, vcc, v14, v8
	v_addc_co_u32_e32 v9, vcc, v15, v9, vcc
	v_lshlrev_b64 v[10:11], 4, v[6:7]
	v_add_co_u32_e32 v6, vcc, v8, v10
	v_addc_co_u32_e32 v7, vcc, v9, v11, vcc
	global_load_dwordx4 v[6:9], v[6:7], off
	v_mov_b32_e32 v16, s15
	v_sub_co_u32_e32 v12, vcc, s14, v12
	v_subb_co_u32_e32 v13, vcc, v16, v13, vcc
	v_mul_lo_u32 v16, v13, s20
	v_mul_lo_u32 v17, v12, s21
	v_mad_u64_u32 v[12:13], s[4:5], v12, s20, 0
	v_add3_u32 v13, v13, v17, v16
	v_lshlrev_b64 v[12:13], 4, v[12:13]
	v_add_co_u32_e32 v12, vcc, v14, v12
	v_addc_co_u32_e32 v13, vcc, v15, v13, vcc
	v_add_co_u32_e32 v10, vcc, v12, v10
	v_addc_co_u32_e32 v11, vcc, v13, v11, vcc
	s_waitcnt vmcnt(0)
	v_xor_b32_e32 v9, 0x80000000, v9
	global_store_dwordx4 v[10:11], v[6:9], off
	s_or_b64 exec, exec, s[6:7]
	s_and_saveexec_b64 s[4:5], s[8:9]
	s_cbranch_execz .LBB8_29
.LBB8_37:
	v_mov_b32_e32 v6, s18
	v_alignbit_b32 v6, s19, v6, 1
	v_add_co_u32_e32 v12, vcc, 1, v2
	v_mul_lo_u32 v7, v6, s25
	v_mul_hi_u32 v8, v6, s24
	s_lshr_b32 s6, s19, 1
	v_addc_co_u32_e32 v13, vcc, 0, v3, vcc
	v_add_u32_e32 v7, v8, v7
	s_mul_i32 s6, s6, s24
	v_add_u32_e32 v7, s6, v7
	v_mul_lo_u32 v10, v13, s22
	v_mul_lo_u32 v11, v12, s23
	v_mad_u64_u32 v[8:9], s[6:7], v12, s22, 0
	v_add3_u32 v9, v9, v11, v10
	v_mov_b32_e32 v10, s13
	v_add_co_u32_e32 v14, vcc, s12, v0
	v_addc_co_u32_e32 v15, vcc, v10, v1, vcc
	v_lshlrev_b64 v[8:9], 4, v[8:9]
	v_mul_lo_u32 v6, v6, s24
	v_add_co_u32_e32 v8, vcc, v14, v8
	v_addc_co_u32_e32 v9, vcc, v15, v9, vcc
	v_lshlrev_b64 v[10:11], 4, v[6:7]
	v_add_co_u32_e32 v6, vcc, v8, v10
	v_addc_co_u32_e32 v7, vcc, v9, v11, vcc
	global_load_dwordx4 v[6:9], v[6:7], off
	v_mov_b32_e32 v16, s17
	v_sub_co_u32_e32 v12, vcc, s16, v12
	v_subb_co_u32_e32 v13, vcc, v16, v13, vcc
	v_mul_lo_u32 v16, v13, s22
	v_mul_lo_u32 v17, v12, s23
	v_mad_u64_u32 v[12:13], s[6:7], v12, s22, 0
	v_add3_u32 v13, v13, v17, v16
	v_lshlrev_b64 v[12:13], 4, v[12:13]
	v_add_co_u32_e32 v12, vcc, v14, v12
	v_addc_co_u32_e32 v13, vcc, v15, v13, vcc
	v_add_co_u32_e32 v10, vcc, v12, v10
	v_addc_co_u32_e32 v11, vcc, v13, v11, vcc
	s_waitcnt vmcnt(0)
	v_xor_b32_e32 v9, 0x80000000, v9
	global_store_dwordx4 v[10:11], v[6:9], off
	s_or_b64 exec, exec, s[4:5]
	s_and_saveexec_b64 s[4:5], s[2:3]
	s_cbranch_execz .LBB8_30
.LBB8_38:
	v_mov_b32_e32 v6, s14
	v_alignbit_b32 v6, s15, v6, 1
	v_mul_lo_u32 v7, v6, s21
	v_mul_hi_u32 v8, v6, s20
	v_add_u32_e32 v7, v8, v7
	s_lshr_b32 s2, s15, 1
	v_mov_b32_e32 v8, s18
	s_mul_i32 s2, s2, s20
	v_alignbit_b32 v8, s19, v8, 1
	v_add_u32_e32 v7, s2, v7
	v_add_co_u32_e32 v12, vcc, 1, v2
	v_mul_lo_u32 v9, v8, s25
	v_mul_hi_u32 v10, v8, s24
	s_lshr_b32 s2, s19, 1
	v_mul_lo_u32 v6, v6, s20
	v_addc_co_u32_e32 v13, vcc, 0, v3, vcc
	v_add_u32_e32 v9, v10, v9
	s_mul_i32 s2, s2, s24
	v_add_u32_e32 v9, s2, v9
	v_mul_lo_u32 v14, v13, s22
	v_mul_lo_u32 v15, v12, s23
	v_mad_u64_u32 v[10:11], s[2:3], v12, s22, 0
	v_lshlrev_b64 v[6:7], 4, v[6:7]
	v_add3_u32 v11, v11, v15, v14
	v_mov_b32_e32 v14, s13
	v_add_co_u32_e32 v6, vcc, s12, v6
	v_addc_co_u32_e32 v7, vcc, v7, v14, vcc
	v_add_co_u32_e32 v14, vcc, v6, v0
	v_addc_co_u32_e32 v15, vcc, v7, v1, vcc
	v_lshlrev_b64 v[6:7], 4, v[10:11]
	v_mul_lo_u32 v8, v8, s24
	v_add_co_u32_e32 v6, vcc, v14, v6
	v_addc_co_u32_e32 v7, vcc, v15, v7, vcc
	v_lshlrev_b64 v[10:11], 4, v[8:9]
	v_add_co_u32_e32 v6, vcc, v6, v10
	v_addc_co_u32_e32 v7, vcc, v7, v11, vcc
	global_load_dwordx4 v[6:9], v[6:7], off
	v_mov_b32_e32 v16, s17
	v_sub_co_u32_e32 v12, vcc, s16, v12
	v_subb_co_u32_e32 v13, vcc, v16, v13, vcc
	v_mul_lo_u32 v16, v13, s22
	v_mul_lo_u32 v17, v12, s23
	v_mad_u64_u32 v[12:13], s[2:3], v12, s22, 0
	v_add3_u32 v13, v13, v17, v16
	v_lshlrev_b64 v[12:13], 4, v[12:13]
	v_add_co_u32_e32 v12, vcc, v14, v12
	v_addc_co_u32_e32 v13, vcc, v15, v13, vcc
	v_add_co_u32_e32 v10, vcc, v12, v10
	v_addc_co_u32_e32 v11, vcc, v13, v11, vcc
	s_waitcnt vmcnt(0)
	v_xor_b32_e32 v9, 0x80000000, v9
	global_store_dwordx4 v[10:11], v[6:9], off
	s_or_b64 exec, exec, s[4:5]
	s_and_b64 exec, exec, s[0:1]
	s_cbranch_execnz .LBB8_31
	s_branch .LBB8_32
	.section	.rodata,"a",@progbits
	.p2align	6, 0x0
	.amdhsa_kernel _ZL47impose_hermitian_symmetry_interleaved_3D_kernelI15HIP_vector_typeIdLj2EEEvPT_mmmmmmmmmmmbbb
		.amdhsa_group_segment_fixed_size 0
		.amdhsa_private_segment_fixed_size 0
		.amdhsa_kernarg_size 360
		.amdhsa_user_sgpr_count 6
		.amdhsa_user_sgpr_private_segment_buffer 1
		.amdhsa_user_sgpr_dispatch_ptr 0
		.amdhsa_user_sgpr_queue_ptr 0
		.amdhsa_user_sgpr_kernarg_segment_ptr 1
		.amdhsa_user_sgpr_dispatch_id 0
		.amdhsa_user_sgpr_flat_scratch_init 0
		.amdhsa_user_sgpr_kernarg_preload_length 0
		.amdhsa_user_sgpr_kernarg_preload_offset 0
		.amdhsa_user_sgpr_private_segment_size 0
		.amdhsa_uses_dynamic_stack 0
		.amdhsa_system_sgpr_private_segment_wavefront_offset 0
		.amdhsa_system_sgpr_workgroup_id_x 1
		.amdhsa_system_sgpr_workgroup_id_y 1
		.amdhsa_system_sgpr_workgroup_id_z 1
		.amdhsa_system_sgpr_workgroup_info 0
		.amdhsa_system_vgpr_workitem_id 2
		.amdhsa_next_free_vgpr 18
		.amdhsa_next_free_sgpr 44
		.amdhsa_accum_offset 20
		.amdhsa_reserve_vcc 1
		.amdhsa_reserve_flat_scratch 0
		.amdhsa_float_round_mode_32 0
		.amdhsa_float_round_mode_16_64 0
		.amdhsa_float_denorm_mode_32 3
		.amdhsa_float_denorm_mode_16_64 3
		.amdhsa_dx10_clamp 1
		.amdhsa_ieee_mode 1
		.amdhsa_fp16_overflow 0
		.amdhsa_tg_split 0
		.amdhsa_exception_fp_ieee_invalid_op 0
		.amdhsa_exception_fp_denorm_src 0
		.amdhsa_exception_fp_ieee_div_zero 0
		.amdhsa_exception_fp_ieee_overflow 0
		.amdhsa_exception_fp_ieee_underflow 0
		.amdhsa_exception_fp_ieee_inexact 0
		.amdhsa_exception_int_div_zero 0
	.end_amdhsa_kernel
	.section	.text._ZL47impose_hermitian_symmetry_interleaved_3D_kernelI15HIP_vector_typeIdLj2EEEvPT_mmmmmmmmmmmbbb,"axG",@progbits,_ZL47impose_hermitian_symmetry_interleaved_3D_kernelI15HIP_vector_typeIdLj2EEEvPT_mmmmmmmmmmmbbb,comdat
.Lfunc_end8:
	.size	_ZL47impose_hermitian_symmetry_interleaved_3D_kernelI15HIP_vector_typeIdLj2EEEvPT_mmmmmmmmmmmbbb, .Lfunc_end8-_ZL47impose_hermitian_symmetry_interleaved_3D_kernelI15HIP_vector_typeIdLj2EEEvPT_mmmmmmmmmmmbbb
                                        ; -- End function
	.section	.AMDGPU.csdata,"",@progbits
; Kernel info:
; codeLenInByte = 4336
; NumSgprs: 48
; NumVgprs: 18
; NumAgprs: 0
; TotalNumVgprs: 18
; ScratchSize: 0
; MemoryBound: 0
; FloatMode: 240
; IeeeMode: 1
; LDSByteSize: 0 bytes/workgroup (compile time only)
; SGPRBlocks: 5
; VGPRBlocks: 2
; NumSGPRsForWavesPerEU: 48
; NumVGPRsForWavesPerEU: 18
; AccumOffset: 20
; Occupancy: 8
; WaveLimiterHint : 0
; COMPUTE_PGM_RSRC2:SCRATCH_EN: 0
; COMPUTE_PGM_RSRC2:USER_SGPR: 6
; COMPUTE_PGM_RSRC2:TRAP_HANDLER: 0
; COMPUTE_PGM_RSRC2:TGID_X_EN: 1
; COMPUTE_PGM_RSRC2:TGID_Y_EN: 1
; COMPUTE_PGM_RSRC2:TGID_Z_EN: 1
; COMPUTE_PGM_RSRC2:TIDIG_COMP_CNT: 2
; COMPUTE_PGM_RSRC3_GFX90A:ACCUM_OFFSET: 4
; COMPUTE_PGM_RSRC3_GFX90A:TG_SPLIT: 0
	.text
	.p2alignl 6, 3212836864
	.fill 256, 4, 3212836864
	.type	__hip_cuid_9f5ed5d5232a4e90,@object ; @__hip_cuid_9f5ed5d5232a4e90
	.section	.bss,"aw",@nobits
	.globl	__hip_cuid_9f5ed5d5232a4e90
__hip_cuid_9f5ed5d5232a4e90:
	.byte	0                               ; 0x0
	.size	__hip_cuid_9f5ed5d5232a4e90, 1

	.ident	"AMD clang version 19.0.0git (https://github.com/RadeonOpenCompute/llvm-project roc-6.4.0 25133 c7fe45cf4b819c5991fe208aaa96edf142730f1d)"
	.section	".note.GNU-stack","",@progbits
	.addrsig
	.addrsig_sym __hip_cuid_9f5ed5d5232a4e90
	.amdgpu_metadata
---
amdhsa.kernels:
  - .agpr_count:     0
    .args:
      - .address_space:  global
        .offset:         0
        .size:           8
        .value_kind:     global_buffer
      - .offset:         8
        .size:           8
        .value_kind:     by_value
      - .offset:         16
        .size:           8
        .value_kind:     by_value
      - .offset:         24
        .size:           4
        .value_kind:     hidden_block_count_x
      - .offset:         28
        .size:           4
        .value_kind:     hidden_block_count_y
      - .offset:         32
        .size:           4
        .value_kind:     hidden_block_count_z
      - .offset:         36
        .size:           2
        .value_kind:     hidden_group_size_x
      - .offset:         38
        .size:           2
        .value_kind:     hidden_group_size_y
      - .offset:         40
        .size:           2
        .value_kind:     hidden_group_size_z
      - .offset:         42
        .size:           2
        .value_kind:     hidden_remainder_x
      - .offset:         44
        .size:           2
        .value_kind:     hidden_remainder_y
      - .offset:         46
        .size:           2
        .value_kind:     hidden_remainder_z
      - .offset:         64
        .size:           8
        .value_kind:     hidden_global_offset_x
      - .offset:         72
        .size:           8
        .value_kind:     hidden_global_offset_y
      - .offset:         80
        .size:           8
        .value_kind:     hidden_global_offset_z
      - .offset:         88
        .size:           2
        .value_kind:     hidden_grid_dims
    .group_segment_fixed_size: 0
    .kernarg_segment_align: 8
    .kernarg_segment_size: 280
    .language:       OpenCL C
    .language_version:
      - 2
      - 0
    .max_flat_workgroup_size: 1024
    .name:           _Z10initrdata1Pdmm
    .private_segment_fixed_size: 0
    .sgpr_count:     12
    .sgpr_spill_count: 0
    .symbol:         _Z10initrdata1Pdmm.kd
    .uniform_work_group_size: 1
    .uses_dynamic_stack: false
    .vgpr_count:     6
    .vgpr_spill_count: 0
    .wavefront_size: 64
  - .agpr_count:     0
    .args:
      - .address_space:  global
        .offset:         0
        .size:           8
        .value_kind:     global_buffer
      - .offset:         8
        .size:           8
        .value_kind:     by_value
      - .offset:         16
        .size:           8
        .value_kind:     by_value
      - .offset:         24
        .size:           8
        .value_kind:     by_value
      - .offset:         32
        .size:           8
        .value_kind:     by_value
      - .offset:         40
        .size:           4
        .value_kind:     hidden_block_count_x
      - .offset:         44
        .size:           4
        .value_kind:     hidden_block_count_y
      - .offset:         48
        .size:           4
        .value_kind:     hidden_block_count_z
      - .offset:         52
        .size:           2
        .value_kind:     hidden_group_size_x
      - .offset:         54
        .size:           2
        .value_kind:     hidden_group_size_y
      - .offset:         56
        .size:           2
        .value_kind:     hidden_group_size_z
      - .offset:         58
        .size:           2
        .value_kind:     hidden_remainder_x
      - .offset:         60
        .size:           2
        .value_kind:     hidden_remainder_y
      - .offset:         62
        .size:           2
        .value_kind:     hidden_remainder_z
      - .offset:         80
        .size:           8
        .value_kind:     hidden_global_offset_x
      - .offset:         88
        .size:           8
        .value_kind:     hidden_global_offset_y
      - .offset:         96
        .size:           8
        .value_kind:     hidden_global_offset_z
      - .offset:         104
        .size:           2
        .value_kind:     hidden_grid_dims
    .group_segment_fixed_size: 0
    .kernarg_segment_align: 8
    .kernarg_segment_size: 296
    .language:       OpenCL C
    .language_version:
      - 2
      - 0
    .max_flat_workgroup_size: 1024
    .name:           _Z10initrdata2Pdmmmm
    .private_segment_fixed_size: 0
    .sgpr_count:     20
    .sgpr_spill_count: 0
    .symbol:         _Z10initrdata2Pdmmmm.kd
    .uniform_work_group_size: 1
    .uses_dynamic_stack: false
    .vgpr_count:     10
    .vgpr_spill_count: 0
    .wavefront_size: 64
  - .agpr_count:     0
    .args:
      - .address_space:  global
        .offset:         0
        .size:           8
        .value_kind:     global_buffer
      - .offset:         8
        .size:           8
        .value_kind:     by_value
      - .offset:         16
        .size:           8
        .value_kind:     by_value
      - .offset:         24
        .size:           8
        .value_kind:     by_value
      - .offset:         32
        .size:           8
        .value_kind:     by_value
      - .offset:         40
        .size:           8
        .value_kind:     by_value
      - .offset:         48
        .size:           8
        .value_kind:     by_value
      - .offset:         56
        .size:           4
        .value_kind:     hidden_block_count_x
      - .offset:         60
        .size:           4
        .value_kind:     hidden_block_count_y
      - .offset:         64
        .size:           4
        .value_kind:     hidden_block_count_z
      - .offset:         68
        .size:           2
        .value_kind:     hidden_group_size_x
      - .offset:         70
        .size:           2
        .value_kind:     hidden_group_size_y
      - .offset:         72
        .size:           2
        .value_kind:     hidden_group_size_z
      - .offset:         74
        .size:           2
        .value_kind:     hidden_remainder_x
      - .offset:         76
        .size:           2
        .value_kind:     hidden_remainder_y
      - .offset:         78
        .size:           2
        .value_kind:     hidden_remainder_z
      - .offset:         96
        .size:           8
        .value_kind:     hidden_global_offset_x
      - .offset:         104
        .size:           8
        .value_kind:     hidden_global_offset_y
      - .offset:         112
        .size:           8
        .value_kind:     hidden_global_offset_z
      - .offset:         120
        .size:           2
        .value_kind:     hidden_grid_dims
    .group_segment_fixed_size: 0
    .kernarg_segment_align: 8
    .kernarg_segment_size: 312
    .language:       OpenCL C
    .language_version:
      - 2
      - 0
    .max_flat_workgroup_size: 1024
    .name:           _Z10initrdata3Pdmmmmmm
    .private_segment_fixed_size: 0
    .sgpr_count:     34
    .sgpr_spill_count: 0
    .symbol:         _Z10initrdata3Pdmmmmmm.kd
    .uniform_work_group_size: 1
    .uses_dynamic_stack: false
    .vgpr_count:     36
    .vgpr_spill_count: 0
    .wavefront_size: 64
  - .agpr_count:     0
    .args:
      - .address_space:  global
        .offset:         0
        .size:           8
        .value_kind:     global_buffer
      - .offset:         8
        .size:           8
        .value_kind:     by_value
      - .offset:         16
        .size:           8
        .value_kind:     by_value
      - .offset:         24
        .size:           4
        .value_kind:     hidden_block_count_x
      - .offset:         28
        .size:           4
        .value_kind:     hidden_block_count_y
      - .offset:         32
        .size:           4
        .value_kind:     hidden_block_count_z
      - .offset:         36
        .size:           2
        .value_kind:     hidden_group_size_x
      - .offset:         38
        .size:           2
        .value_kind:     hidden_group_size_y
      - .offset:         40
        .size:           2
        .value_kind:     hidden_group_size_z
      - .offset:         42
        .size:           2
        .value_kind:     hidden_remainder_x
      - .offset:         44
        .size:           2
        .value_kind:     hidden_remainder_y
      - .offset:         46
        .size:           2
        .value_kind:     hidden_remainder_z
      - .offset:         64
        .size:           8
        .value_kind:     hidden_global_offset_x
      - .offset:         72
        .size:           8
        .value_kind:     hidden_global_offset_y
      - .offset:         80
        .size:           8
        .value_kind:     hidden_global_offset_z
      - .offset:         88
        .size:           2
        .value_kind:     hidden_grid_dims
    .group_segment_fixed_size: 0
    .kernarg_segment_align: 8
    .kernarg_segment_size: 280
    .language:       OpenCL C
    .language_version:
      - 2
      - 0
    .max_flat_workgroup_size: 1024
    .name:           _Z10initcdata1P15HIP_vector_typeIdLj2EEmm
    .private_segment_fixed_size: 0
    .sgpr_count:     12
    .sgpr_spill_count: 0
    .symbol:         _Z10initcdata1P15HIP_vector_typeIdLj2EEmm.kd
    .uniform_work_group_size: 1
    .uses_dynamic_stack: false
    .vgpr_count:     6
    .vgpr_spill_count: 0
    .wavefront_size: 64
  - .agpr_count:     0
    .args:
      - .address_space:  global
        .offset:         0
        .size:           8
        .value_kind:     global_buffer
      - .offset:         8
        .size:           8
        .value_kind:     by_value
      - .offset:         16
        .size:           8
        .value_kind:     by_value
      - .offset:         24
        .size:           8
        .value_kind:     by_value
      - .offset:         32
        .size:           8
        .value_kind:     by_value
      - .offset:         40
        .size:           4
        .value_kind:     hidden_block_count_x
      - .offset:         44
        .size:           4
        .value_kind:     hidden_block_count_y
      - .offset:         48
        .size:           4
        .value_kind:     hidden_block_count_z
      - .offset:         52
        .size:           2
        .value_kind:     hidden_group_size_x
      - .offset:         54
        .size:           2
        .value_kind:     hidden_group_size_y
      - .offset:         56
        .size:           2
        .value_kind:     hidden_group_size_z
      - .offset:         58
        .size:           2
        .value_kind:     hidden_remainder_x
      - .offset:         60
        .size:           2
        .value_kind:     hidden_remainder_y
      - .offset:         62
        .size:           2
        .value_kind:     hidden_remainder_z
      - .offset:         80
        .size:           8
        .value_kind:     hidden_global_offset_x
      - .offset:         88
        .size:           8
        .value_kind:     hidden_global_offset_y
      - .offset:         96
        .size:           8
        .value_kind:     hidden_global_offset_z
      - .offset:         104
        .size:           2
        .value_kind:     hidden_grid_dims
    .group_segment_fixed_size: 0
    .kernarg_segment_align: 8
    .kernarg_segment_size: 296
    .language:       OpenCL C
    .language_version:
      - 2
      - 0
    .max_flat_workgroup_size: 1024
    .name:           _Z10initcdata2P15HIP_vector_typeIdLj2EEmmmm
    .private_segment_fixed_size: 0
    .sgpr_count:     20
    .sgpr_spill_count: 0
    .symbol:         _Z10initcdata2P15HIP_vector_typeIdLj2EEmmmm.kd
    .uniform_work_group_size: 1
    .uses_dynamic_stack: false
    .vgpr_count:     10
    .vgpr_spill_count: 0
    .wavefront_size: 64
  - .agpr_count:     0
    .args:
      - .address_space:  global
        .offset:         0
        .size:           8
        .value_kind:     global_buffer
      - .offset:         8
        .size:           8
        .value_kind:     by_value
      - .offset:         16
        .size:           8
        .value_kind:     by_value
      - .offset:         24
        .size:           8
        .value_kind:     by_value
      - .offset:         32
        .size:           8
        .value_kind:     by_value
      - .offset:         40
        .size:           8
        .value_kind:     by_value
      - .offset:         48
        .size:           8
        .value_kind:     by_value
      - .offset:         56
        .size:           4
        .value_kind:     hidden_block_count_x
      - .offset:         60
        .size:           4
        .value_kind:     hidden_block_count_y
      - .offset:         64
        .size:           4
        .value_kind:     hidden_block_count_z
      - .offset:         68
        .size:           2
        .value_kind:     hidden_group_size_x
      - .offset:         70
        .size:           2
        .value_kind:     hidden_group_size_y
      - .offset:         72
        .size:           2
        .value_kind:     hidden_group_size_z
      - .offset:         74
        .size:           2
        .value_kind:     hidden_remainder_x
      - .offset:         76
        .size:           2
        .value_kind:     hidden_remainder_y
      - .offset:         78
        .size:           2
        .value_kind:     hidden_remainder_z
      - .offset:         96
        .size:           8
        .value_kind:     hidden_global_offset_x
      - .offset:         104
        .size:           8
        .value_kind:     hidden_global_offset_y
      - .offset:         112
        .size:           8
        .value_kind:     hidden_global_offset_z
      - .offset:         120
        .size:           2
        .value_kind:     hidden_grid_dims
    .group_segment_fixed_size: 0
    .kernarg_segment_align: 8
    .kernarg_segment_size: 312
    .language:       OpenCL C
    .language_version:
      - 2
      - 0
    .max_flat_workgroup_size: 1024
    .name:           _Z10initcdata3P15HIP_vector_typeIdLj2EEmmmmmm
    .private_segment_fixed_size: 0
    .sgpr_count:     24
    .sgpr_spill_count: 0
    .symbol:         _Z10initcdata3P15HIP_vector_typeIdLj2EEmmmmmm.kd
    .uniform_work_group_size: 1
    .uses_dynamic_stack: false
    .vgpr_count:     14
    .vgpr_spill_count: 0
    .wavefront_size: 64
  - .agpr_count:     0
    .args:
      - .address_space:  global
        .offset:         0
        .size:           8
        .value_kind:     global_buffer
      - .offset:         8
        .size:           8
        .value_kind:     by_value
      - .offset:         16
        .size:           8
        .value_kind:     by_value
      - .offset:         24
        .size:           8
        .value_kind:     by_value
      - .offset:         32
        .size:           8
        .value_kind:     by_value
      - .offset:         40
        .size:           1
        .value_kind:     by_value
      - .offset:         48
        .size:           4
        .value_kind:     hidden_block_count_x
      - .offset:         52
        .size:           4
        .value_kind:     hidden_block_count_y
      - .offset:         56
        .size:           4
        .value_kind:     hidden_block_count_z
      - .offset:         60
        .size:           2
        .value_kind:     hidden_group_size_x
      - .offset:         62
        .size:           2
        .value_kind:     hidden_group_size_y
      - .offset:         64
        .size:           2
        .value_kind:     hidden_group_size_z
      - .offset:         66
        .size:           2
        .value_kind:     hidden_remainder_x
      - .offset:         68
        .size:           2
        .value_kind:     hidden_remainder_y
      - .offset:         70
        .size:           2
        .value_kind:     hidden_remainder_z
      - .offset:         88
        .size:           8
        .value_kind:     hidden_global_offset_x
      - .offset:         96
        .size:           8
        .value_kind:     hidden_global_offset_y
      - .offset:         104
        .size:           8
        .value_kind:     hidden_global_offset_z
      - .offset:         112
        .size:           2
        .value_kind:     hidden_grid_dims
    .group_segment_fixed_size: 0
    .kernarg_segment_align: 8
    .kernarg_segment_size: 304
    .language:       OpenCL C
    .language_version:
      - 2
      - 0
    .max_flat_workgroup_size: 1024
    .name:           _ZL47impose_hermitian_symmetry_interleaved_1D_kernelI15HIP_vector_typeIdLj2EEEvPT_mmmmb
    .private_segment_fixed_size: 0
    .sgpr_count:     20
    .sgpr_spill_count: 0
    .symbol:         _ZL47impose_hermitian_symmetry_interleaved_1D_kernelI15HIP_vector_typeIdLj2EEEvPT_mmmmb.kd
    .uniform_work_group_size: 1
    .uses_dynamic_stack: false
    .vgpr_count:     7
    .vgpr_spill_count: 0
    .wavefront_size: 64
  - .agpr_count:     0
    .args:
      - .address_space:  global
        .offset:         0
        .size:           8
        .value_kind:     global_buffer
      - .offset:         8
        .size:           8
        .value_kind:     by_value
      - .offset:         16
        .size:           8
        .value_kind:     by_value
      - .offset:         24
        .size:           8
        .value_kind:     by_value
      - .offset:         32
        .size:           8
        .value_kind:     by_value
      - .offset:         40
        .size:           8
        .value_kind:     by_value
      - .offset:         48
        .size:           8
        .value_kind:     by_value
      - .offset:         56
        .size:           8
        .value_kind:     by_value
      - .offset:         64
        .size:           1
        .value_kind:     by_value
      - .offset:         65
        .size:           1
        .value_kind:     by_value
      - .offset:         72
        .size:           4
        .value_kind:     hidden_block_count_x
      - .offset:         76
        .size:           4
        .value_kind:     hidden_block_count_y
      - .offset:         80
        .size:           4
        .value_kind:     hidden_block_count_z
      - .offset:         84
        .size:           2
        .value_kind:     hidden_group_size_x
      - .offset:         86
        .size:           2
        .value_kind:     hidden_group_size_y
      - .offset:         88
        .size:           2
        .value_kind:     hidden_group_size_z
      - .offset:         90
        .size:           2
        .value_kind:     hidden_remainder_x
      - .offset:         92
        .size:           2
        .value_kind:     hidden_remainder_y
      - .offset:         94
        .size:           2
        .value_kind:     hidden_remainder_z
      - .offset:         112
        .size:           8
        .value_kind:     hidden_global_offset_x
      - .offset:         120
        .size:           8
        .value_kind:     hidden_global_offset_y
      - .offset:         128
        .size:           8
        .value_kind:     hidden_global_offset_z
      - .offset:         136
        .size:           2
        .value_kind:     hidden_grid_dims
    .group_segment_fixed_size: 0
    .kernarg_segment_align: 8
    .kernarg_segment_size: 328
    .language:       OpenCL C
    .language_version:
      - 2
      - 0
    .max_flat_workgroup_size: 1024
    .name:           _ZL47impose_hermitian_symmetry_interleaved_2D_kernelI15HIP_vector_typeIdLj2EEEvPT_mmmmmmmbb
    .private_segment_fixed_size: 0
    .sgpr_count:     28
    .sgpr_spill_count: 0
    .symbol:         _ZL47impose_hermitian_symmetry_interleaved_2D_kernelI15HIP_vector_typeIdLj2EEEvPT_mmmmmmmbb.kd
    .uniform_work_group_size: 1
    .uses_dynamic_stack: false
    .vgpr_count:     13
    .vgpr_spill_count: 0
    .wavefront_size: 64
  - .agpr_count:     0
    .args:
      - .address_space:  global
        .offset:         0
        .size:           8
        .value_kind:     global_buffer
      - .offset:         8
        .size:           8
        .value_kind:     by_value
      - .offset:         16
        .size:           8
        .value_kind:     by_value
      - .offset:         24
        .size:           8
        .value_kind:     by_value
      - .offset:         32
        .size:           8
        .value_kind:     by_value
      - .offset:         40
        .size:           8
        .value_kind:     by_value
      - .offset:         48
        .size:           8
        .value_kind:     by_value
      - .offset:         56
        .size:           8
        .value_kind:     by_value
      - .offset:         64
        .size:           8
        .value_kind:     by_value
      - .offset:         72
        .size:           8
        .value_kind:     by_value
      - .offset:         80
        .size:           8
        .value_kind:     by_value
      - .offset:         88
        .size:           8
        .value_kind:     by_value
      - .offset:         96
        .size:           1
        .value_kind:     by_value
      - .offset:         97
        .size:           1
        .value_kind:     by_value
      - .offset:         98
        .size:           1
        .value_kind:     by_value
      - .offset:         104
        .size:           4
        .value_kind:     hidden_block_count_x
      - .offset:         108
        .size:           4
        .value_kind:     hidden_block_count_y
      - .offset:         112
        .size:           4
        .value_kind:     hidden_block_count_z
      - .offset:         116
        .size:           2
        .value_kind:     hidden_group_size_x
      - .offset:         118
        .size:           2
        .value_kind:     hidden_group_size_y
      - .offset:         120
        .size:           2
        .value_kind:     hidden_group_size_z
      - .offset:         122
        .size:           2
        .value_kind:     hidden_remainder_x
      - .offset:         124
        .size:           2
        .value_kind:     hidden_remainder_y
      - .offset:         126
        .size:           2
        .value_kind:     hidden_remainder_z
      - .offset:         144
        .size:           8
        .value_kind:     hidden_global_offset_x
      - .offset:         152
        .size:           8
        .value_kind:     hidden_global_offset_y
      - .offset:         160
        .size:           8
        .value_kind:     hidden_global_offset_z
      - .offset:         168
        .size:           2
        .value_kind:     hidden_grid_dims
    .group_segment_fixed_size: 0
    .kernarg_segment_align: 8
    .kernarg_segment_size: 360
    .language:       OpenCL C
    .language_version:
      - 2
      - 0
    .max_flat_workgroup_size: 1024
    .name:           _ZL47impose_hermitian_symmetry_interleaved_3D_kernelI15HIP_vector_typeIdLj2EEEvPT_mmmmmmmmmmmbbb
    .private_segment_fixed_size: 0
    .sgpr_count:     48
    .sgpr_spill_count: 0
    .symbol:         _ZL47impose_hermitian_symmetry_interleaved_3D_kernelI15HIP_vector_typeIdLj2EEEvPT_mmmmmmmmmmmbbb.kd
    .uniform_work_group_size: 1
    .uses_dynamic_stack: false
    .vgpr_count:     18
    .vgpr_spill_count: 0
    .wavefront_size: 64
amdhsa.target:   amdgcn-amd-amdhsa--gfx90a
amdhsa.version:
  - 1
  - 2
...

	.end_amdgpu_metadata
